;; amdgpu-corpus repo=ROCm/rocFFT kind=compiled arch=gfx1030 opt=O3
	.text
	.amdgcn_target "amdgcn-amd-amdhsa--gfx1030"
	.amdhsa_code_object_version 6
	.protected	fft_rtc_fwd_len221_factors_17_13_wgs_119_tpt_17_halfLds_dp_op_CI_CI_unitstride_sbrr_dirReg ; -- Begin function fft_rtc_fwd_len221_factors_17_13_wgs_119_tpt_17_halfLds_dp_op_CI_CI_unitstride_sbrr_dirReg
	.globl	fft_rtc_fwd_len221_factors_17_13_wgs_119_tpt_17_halfLds_dp_op_CI_CI_unitstride_sbrr_dirReg
	.p2align	8
	.type	fft_rtc_fwd_len221_factors_17_13_wgs_119_tpt_17_halfLds_dp_op_CI_CI_unitstride_sbrr_dirReg,@function
fft_rtc_fwd_len221_factors_17_13_wgs_119_tpt_17_halfLds_dp_op_CI_CI_unitstride_sbrr_dirReg: ; @fft_rtc_fwd_len221_factors_17_13_wgs_119_tpt_17_halfLds_dp_op_CI_CI_unitstride_sbrr_dirReg
; %bb.0:
	s_load_dwordx4 s[12:15], s[4:5], 0x0
	v_mul_u32_u24_e32 v1, 0xf10, v0
	s_clause 0x1
	s_load_dwordx4 s[8:11], s[4:5], 0x58
	s_load_dwordx4 s[16:19], s[4:5], 0x18
	v_mov_b32_e32 v70, 0
	v_mov_b32_e32 v71, 0
	v_lshrrev_b32_e32 v2, 16, v1
	v_mov_b32_e32 v1, 0
	v_mov_b32_e32 v93, v71
	;; [unrolled: 1-line block ×3, first 2 shown]
	v_mad_u64_u32 v[68:69], null, s6, 7, v[2:3]
	v_mov_b32_e32 v69, v1
	v_mov_b32_e32 v96, v69
	;; [unrolled: 1-line block ×3, first 2 shown]
	s_waitcnt lgkmcnt(0)
	v_cmp_lt_u64_e64 s0, s[14:15], 2
	s_and_b32 vcc_lo, exec_lo, s0
	s_cbranch_vccnz .LBB0_8
; %bb.1:
	s_load_dwordx2 s[0:1], s[4:5], 0x10
	v_mov_b32_e32 v70, 0
	v_mov_b32_e32 v71, 0
	s_add_u32 s2, s18, 8
	v_mov_b32_e32 v3, v68
	s_addc_u32 s3, s19, 0
	v_mov_b32_e32 v4, v69
	v_mov_b32_e32 v93, v71
	s_add_u32 s6, s16, 8
	v_mov_b32_e32 v92, v70
	s_addc_u32 s7, s17, 0
	s_mov_b64 s[22:23], 1
	s_waitcnt lgkmcnt(0)
	s_add_u32 s20, s0, 8
	s_addc_u32 s21, s1, 0
.LBB0_2:                                ; =>This Inner Loop Header: Depth=1
	s_load_dwordx2 s[24:25], s[20:21], 0x0
                                        ; implicit-def: $vgpr95_vgpr96
	s_mov_b32 s0, exec_lo
	s_waitcnt lgkmcnt(0)
	v_or_b32_e32 v2, s25, v4
	v_cmpx_ne_u64_e32 0, v[1:2]
	s_xor_b32 s1, exec_lo, s0
	s_cbranch_execz .LBB0_4
; %bb.3:                                ;   in Loop: Header=BB0_2 Depth=1
	v_cvt_f32_u32_e32 v2, s24
	v_cvt_f32_u32_e32 v5, s25
	s_sub_u32 s0, 0, s24
	s_subb_u32 s26, 0, s25
	v_fmac_f32_e32 v2, 0x4f800000, v5
	v_rcp_f32_e32 v2, v2
	v_mul_f32_e32 v2, 0x5f7ffffc, v2
	v_mul_f32_e32 v5, 0x2f800000, v2
	v_trunc_f32_e32 v5, v5
	v_fmac_f32_e32 v2, 0xcf800000, v5
	v_cvt_u32_f32_e32 v5, v5
	v_cvt_u32_f32_e32 v2, v2
	v_mul_lo_u32 v6, s0, v5
	v_mul_hi_u32 v7, s0, v2
	v_mul_lo_u32 v8, s26, v2
	v_add_nc_u32_e32 v6, v7, v6
	v_mul_lo_u32 v7, s0, v2
	v_add_nc_u32_e32 v6, v6, v8
	v_mul_hi_u32 v8, v2, v7
	v_mul_lo_u32 v9, v2, v6
	v_mul_hi_u32 v10, v2, v6
	v_mul_hi_u32 v11, v5, v7
	v_mul_lo_u32 v7, v5, v7
	v_mul_hi_u32 v12, v5, v6
	v_mul_lo_u32 v6, v5, v6
	v_add_co_u32 v8, vcc_lo, v8, v9
	v_add_co_ci_u32_e32 v9, vcc_lo, 0, v10, vcc_lo
	v_add_co_u32 v7, vcc_lo, v8, v7
	v_add_co_ci_u32_e32 v7, vcc_lo, v9, v11, vcc_lo
	v_add_co_ci_u32_e32 v8, vcc_lo, 0, v12, vcc_lo
	v_add_co_u32 v6, vcc_lo, v7, v6
	v_add_co_ci_u32_e32 v7, vcc_lo, 0, v8, vcc_lo
	v_add_co_u32 v2, vcc_lo, v2, v6
	v_add_co_ci_u32_e32 v5, vcc_lo, v5, v7, vcc_lo
	v_mul_hi_u32 v6, s0, v2
	v_mul_lo_u32 v8, s26, v2
	v_mul_lo_u32 v7, s0, v5
	v_add_nc_u32_e32 v6, v6, v7
	v_mul_lo_u32 v7, s0, v2
	v_add_nc_u32_e32 v6, v6, v8
	v_mul_hi_u32 v8, v2, v7
	v_mul_lo_u32 v9, v2, v6
	v_mul_hi_u32 v10, v2, v6
	v_mul_hi_u32 v11, v5, v7
	v_mul_lo_u32 v7, v5, v7
	v_mul_hi_u32 v12, v5, v6
	v_mul_lo_u32 v6, v5, v6
	v_add_co_u32 v8, vcc_lo, v8, v9
	v_add_co_ci_u32_e32 v9, vcc_lo, 0, v10, vcc_lo
	v_add_co_u32 v7, vcc_lo, v8, v7
	v_add_co_ci_u32_e32 v7, vcc_lo, v9, v11, vcc_lo
	v_add_co_ci_u32_e32 v8, vcc_lo, 0, v12, vcc_lo
	v_add_co_u32 v6, vcc_lo, v7, v6
	v_add_co_ci_u32_e32 v7, vcc_lo, 0, v8, vcc_lo
	v_add_co_u32 v2, vcc_lo, v2, v6
	v_add_co_ci_u32_e32 v9, vcc_lo, v5, v7, vcc_lo
	v_mul_hi_u32 v11, v3, v2
	v_mad_u64_u32 v[7:8], null, v4, v2, 0
	v_mad_u64_u32 v[5:6], null, v3, v9, 0
	;; [unrolled: 1-line block ×3, first 2 shown]
	v_add_co_u32 v2, vcc_lo, v11, v5
	v_add_co_ci_u32_e32 v5, vcc_lo, 0, v6, vcc_lo
	v_add_co_u32 v2, vcc_lo, v2, v7
	v_add_co_ci_u32_e32 v2, vcc_lo, v5, v8, vcc_lo
	v_add_co_ci_u32_e32 v5, vcc_lo, 0, v10, vcc_lo
	v_add_co_u32 v2, vcc_lo, v2, v9
	v_add_co_ci_u32_e32 v7, vcc_lo, 0, v5, vcc_lo
	v_mul_lo_u32 v8, s25, v2
	v_mad_u64_u32 v[5:6], null, s24, v2, 0
	v_mul_lo_u32 v9, s24, v7
	v_sub_co_u32 v5, vcc_lo, v3, v5
	v_add3_u32 v6, v6, v9, v8
	v_sub_nc_u32_e32 v8, v4, v6
	v_subrev_co_ci_u32_e64 v8, s0, s25, v8, vcc_lo
	v_add_co_u32 v9, s0, v2, 2
	v_add_co_ci_u32_e64 v10, s0, 0, v7, s0
	v_sub_co_u32 v11, s0, v5, s24
	v_sub_co_ci_u32_e32 v6, vcc_lo, v4, v6, vcc_lo
	v_subrev_co_ci_u32_e64 v8, s0, 0, v8, s0
	v_cmp_le_u32_e32 vcc_lo, s24, v11
	v_cmp_eq_u32_e64 s0, s25, v6
	v_cndmask_b32_e64 v11, 0, -1, vcc_lo
	v_cmp_le_u32_e32 vcc_lo, s25, v8
	v_cndmask_b32_e64 v12, 0, -1, vcc_lo
	v_cmp_le_u32_e32 vcc_lo, s24, v5
	;; [unrolled: 2-line block ×3, first 2 shown]
	v_cndmask_b32_e64 v13, 0, -1, vcc_lo
	v_cmp_eq_u32_e32 vcc_lo, s25, v8
	v_cndmask_b32_e64 v5, v13, v5, s0
	v_cndmask_b32_e32 v8, v12, v11, vcc_lo
	v_add_co_u32 v11, vcc_lo, v2, 1
	v_add_co_ci_u32_e32 v12, vcc_lo, 0, v7, vcc_lo
	v_cmp_ne_u32_e32 vcc_lo, 0, v8
	v_cndmask_b32_e32 v6, v12, v10, vcc_lo
	v_cndmask_b32_e32 v8, v11, v9, vcc_lo
	v_cmp_ne_u32_e32 vcc_lo, 0, v5
	v_cndmask_b32_e32 v96, v7, v6, vcc_lo
	v_cndmask_b32_e32 v95, v2, v8, vcc_lo
.LBB0_4:                                ;   in Loop: Header=BB0_2 Depth=1
	s_andn2_saveexec_b32 s0, s1
	s_cbranch_execz .LBB0_6
; %bb.5:                                ;   in Loop: Header=BB0_2 Depth=1
	v_cvt_f32_u32_e32 v2, s24
	s_sub_i32 s1, 0, s24
	v_mov_b32_e32 v96, v1
	v_rcp_iflag_f32_e32 v2, v2
	v_mul_f32_e32 v2, 0x4f7ffffe, v2
	v_cvt_u32_f32_e32 v2, v2
	v_mul_lo_u32 v5, s1, v2
	v_mul_hi_u32 v5, v2, v5
	v_add_nc_u32_e32 v2, v2, v5
	v_mul_hi_u32 v2, v3, v2
	v_mul_lo_u32 v5, v2, s24
	v_add_nc_u32_e32 v6, 1, v2
	v_sub_nc_u32_e32 v5, v3, v5
	v_subrev_nc_u32_e32 v7, s24, v5
	v_cmp_le_u32_e32 vcc_lo, s24, v5
	v_cndmask_b32_e32 v5, v5, v7, vcc_lo
	v_cndmask_b32_e32 v2, v2, v6, vcc_lo
	v_cmp_le_u32_e32 vcc_lo, s24, v5
	v_add_nc_u32_e32 v6, 1, v2
	v_cndmask_b32_e32 v95, v2, v6, vcc_lo
.LBB0_6:                                ;   in Loop: Header=BB0_2 Depth=1
	s_or_b32 exec_lo, exec_lo, s0
	v_mul_lo_u32 v2, v96, s24
	v_mul_lo_u32 v7, v95, s25
	s_load_dwordx2 s[0:1], s[6:7], 0x0
	v_mad_u64_u32 v[5:6], null, v95, s24, 0
	s_load_dwordx2 s[24:25], s[2:3], 0x0
	s_add_u32 s22, s22, 1
	s_addc_u32 s23, s23, 0
	s_add_u32 s2, s2, 8
	s_addc_u32 s3, s3, 0
	s_add_u32 s6, s6, 8
	v_add3_u32 v2, v6, v7, v2
	v_sub_co_u32 v3, vcc_lo, v3, v5
	s_addc_u32 s7, s7, 0
	s_add_u32 s20, s20, 8
	v_sub_co_ci_u32_e32 v2, vcc_lo, v4, v2, vcc_lo
	s_addc_u32 s21, s21, 0
	s_waitcnt lgkmcnt(0)
	v_mul_lo_u32 v4, s0, v2
	v_mul_lo_u32 v5, s1, v3
	v_mad_u64_u32 v[70:71], null, s0, v3, v[70:71]
	v_mul_lo_u32 v2, s24, v2
	v_mul_lo_u32 v6, s25, v3
	v_mad_u64_u32 v[92:93], null, s24, v3, v[92:93]
	v_cmp_ge_u64_e64 s0, s[22:23], s[14:15]
	v_add3_u32 v71, v5, v71, v4
	v_add3_u32 v93, v6, v93, v2
	s_and_b32 vcc_lo, exec_lo, s0
	s_cbranch_vccnz .LBB0_8
; %bb.7:                                ;   in Loop: Header=BB0_2 Depth=1
	v_mov_b32_e32 v3, v95
	v_mov_b32_e32 v4, v96
	s_branch .LBB0_2
.LBB0_8:
	s_load_dwordx2 s[0:1], s[4:5], 0x28
	s_lshl_b64 s[4:5], s[14:15], 3
	v_mul_hi_u32 v1, 0xf0f0f10, v0
	s_add_u32 s2, s18, s4
	s_addc_u32 s3, s19, s5
	v_mov_b32_e32 v94, 0
	s_load_dwordx2 s[2:3], s[2:3], 0x0
                                        ; implicit-def: $vgpr2_vgpr3
                                        ; implicit-def: $vgpr14_vgpr15
                                        ; implicit-def: $vgpr18_vgpr19
                                        ; implicit-def: $vgpr22_vgpr23
                                        ; implicit-def: $vgpr26_vgpr27
                                        ; implicit-def: $vgpr34_vgpr35
                                        ; implicit-def: $vgpr38_vgpr39
                                        ; implicit-def: $vgpr10_vgpr11
                                        ; implicit-def: $vgpr6_vgpr7
                                        ; implicit-def: $vgpr42_vgpr43
                                        ; implicit-def: $vgpr46_vgpr47
                                        ; implicit-def: $vgpr50_vgpr51
                                        ; implicit-def: $vgpr54_vgpr55
                                        ; implicit-def: $vgpr58_vgpr59
                                        ; implicit-def: $vgpr62_vgpr63
                                        ; implicit-def: $vgpr66_vgpr67
                                        ; implicit-def: $vgpr30_vgpr31
	v_mul_u32_u24_e32 v1, 17, v1
	v_sub_nc_u32_e32 v97, v0, v1
	s_waitcnt lgkmcnt(0)
	v_cmp_gt_u64_e32 vcc_lo, s[0:1], v[95:96]
	s_and_saveexec_b32 s1, vcc_lo
	s_cbranch_execz .LBB0_12
; %bb.9:
	s_mov_b32 s6, exec_lo
                                        ; implicit-def: $vgpr28_vgpr29
                                        ; implicit-def: $vgpr64_vgpr65
                                        ; implicit-def: $vgpr60_vgpr61
                                        ; implicit-def: $vgpr56_vgpr57
                                        ; implicit-def: $vgpr52_vgpr53
                                        ; implicit-def: $vgpr48_vgpr49
                                        ; implicit-def: $vgpr44_vgpr45
                                        ; implicit-def: $vgpr40_vgpr41
                                        ; implicit-def: $vgpr4_vgpr5
                                        ; implicit-def: $vgpr8_vgpr9
                                        ; implicit-def: $vgpr36_vgpr37
                                        ; implicit-def: $vgpr32_vgpr33
                                        ; implicit-def: $vgpr24_vgpr25
                                        ; implicit-def: $vgpr20_vgpr21
                                        ; implicit-def: $vgpr16_vgpr17
                                        ; implicit-def: $vgpr12_vgpr13
                                        ; implicit-def: $vgpr0_vgpr1
	v_cmpx_gt_u32_e32 13, v97
	s_cbranch_execz .LBB0_11
; %bb.10:
	s_add_u32 s4, s16, s4
	s_addc_u32 s5, s17, s5
	v_mov_b32_e32 v98, 0
	s_load_dwordx2 s[4:5], s[4:5], 0x0
	v_or_b32_e32 v4, 0xd0, v97
	v_mov_b32_e32 v5, v98
	v_lshlrev_b64 v[6:7], 4, v[97:98]
	s_waitcnt lgkmcnt(0)
	v_mul_lo_u32 v2, s5, v95
	v_mul_lo_u32 v3, s4, v96
	v_mad_u64_u32 v[0:1], null, s4, v95, 0
	v_add3_u32 v1, v1, v3, v2
	v_lshlrev_b64 v[2:3], 4, v[70:71]
	v_lshlrev_b64 v[0:1], 4, v[0:1]
	v_add_co_u32 v0, s0, s8, v0
	v_add_co_ci_u32_e64 v1, s0, s9, v1, s0
	v_add_co_u32 v8, s0, v0, v2
	v_add_co_ci_u32_e64 v9, s0, v1, v3, s0
	v_lshlrev_b64 v[0:1], 4, v[4:5]
	v_add_co_u32 v2, s0, v8, v6
	v_add_co_ci_u32_e64 v3, s0, v9, v7, s0
	s_clause 0x5
	global_load_dwordx4 v[28:31], v[2:3], off
	global_load_dwordx4 v[64:67], v[2:3], off offset:208
	global_load_dwordx4 v[60:63], v[2:3], off offset:416
	;; [unrolled: 1-line block ×5, first 2 shown]
	v_add_co_u32 v0, s0, v8, v0
	v_add_co_ci_u32_e64 v1, s0, v9, v1, s0
	v_add_co_u32 v12, s0, 0x800, v2
	v_add_co_ci_u32_e64 v13, s0, 0, v3, s0
	s_clause 0xa
	global_load_dwordx4 v[44:47], v[2:3], off offset:1248
	global_load_dwordx4 v[40:43], v[2:3], off offset:1456
	;; [unrolled: 1-line block ×10, first 2 shown]
	global_load_dwordx4 v[0:3], v[0:1], off
.LBB0_11:
	s_or_b32 exec_lo, exec_lo, s6
	v_mov_b32_e32 v94, v97
.LBB0_12:
	s_or_b32 exec_lo, exec_lo, s1
	v_mul_hi_u32 v69, 0x24924925, v68
	v_cmp_gt_u32_e64 s0, 13, v97
	v_sub_nc_u32_e32 v70, v68, v69
	v_lshrrev_b32_e32 v70, 1, v70
	v_add_nc_u32_e32 v69, v70, v69
	v_lshrrev_b32_e32 v69, 2, v69
	v_mul_lo_u32 v69, v69, 7
	v_sub_nc_u32_e32 v68, v68, v69
	v_mul_u32_u24_e32 v68, 0xdd, v68
	v_lshlrev_b32_e32 v112, 3, v68
	s_and_saveexec_b32 s1, s0
	s_cbranch_execz .LBB0_14
; %bb.13:
	s_waitcnt vmcnt(0)
	v_add_f64 v[68:69], v[66:67], -v[2:3]
	s_mov_b32 s8, 0x7c9e640b
	s_mov_b32 s9, 0x3feca52d
	;; [unrolled: 1-line block ×4, first 2 shown]
	v_add_f64 v[70:71], v[0:1], v[64:65]
	v_add_f64 v[76:77], v[62:63], -v[14:15]
	s_mov_b32 s6, 0x2b2883cd
	s_mov_b32 s14, 0x6c9a05f6
	;; [unrolled: 1-line block ×8, first 2 shown]
	v_add_f64 v[72:73], v[12:13], v[60:61]
	s_mov_b32 s4, 0x6ed5f1bb
	s_mov_b32 s22, 0xeb564b22
	;; [unrolled: 1-line block ×6, first 2 shown]
	v_mul_f64 v[74:75], v[68:69], s[18:19]
	v_mul_f64 v[80:81], v[68:69], s[34:35]
	s_mov_b32 s23, 0x3fefdd0d
	s_mov_b32 s21, 0x3fe7a5f6
	;; [unrolled: 1-line block ×4, first 2 shown]
	v_mul_f64 v[100:101], v[76:77], s[14:15]
	s_mov_b32 s30, s22
	s_mov_b32 s37, 0xbfe0d888
	v_add_f64 v[82:83], v[58:59], -v[18:19]
	v_mul_f64 v[84:85], v[68:69], s[28:29]
	v_mul_f64 v[86:87], v[68:69], s[30:31]
	;; [unrolled: 1-line block ×5, first 2 shown]
	v_add_f64 v[133:134], v[64:65], v[28:29]
	s_mov_b32 s16, 0x3259b75e
	s_mov_b32 s24, 0xacd6c6b4
	;; [unrolled: 1-line block ×6, first 2 shown]
	v_fma_f64 v[113:114], v[70:71], s[6:7], -v[74:75]
	v_fma_f64 v[115:116], v[70:71], s[20:21], -v[80:81]
	s_mov_b32 s47, 0x3fc7851a
	s_mov_b32 s39, 0xbfd183b1
	;; [unrolled: 1-line block ×4, first 2 shown]
	v_fma_f64 v[127:128], v[72:73], s[4:5], -v[100:101]
	s_mov_b32 s41, 0xbfeb34fa
	s_mov_b32 s46, s24
	;; [unrolled: 1-line block ×4, first 2 shown]
	v_add_f64 v[78:79], v[16:17], v[56:57]
	v_mul_f64 v[104:105], v[76:77], s[44:45]
	v_fma_f64 v[117:118], v[70:71], s[38:39], -v[84:85]
	v_mul_f64 v[90:91], v[82:83], s[46:47]
	v_mul_f64 v[106:107], v[76:77], s[24:25]
	;; [unrolled: 1-line block ×3, first 2 shown]
	v_fma_f64 v[121:122], v[70:71], s[16:17], -v[86:87]
	v_fma_f64 v[123:124], v[70:71], s[40:41], -v[108:109]
	v_mul_f64 v[125:126], v[76:77], s[42:43]
	v_fma_f64 v[129:130], v[70:71], s[4:5], -v[110:111]
	v_fma_f64 v[131:132], v[72:73], s[16:17], -v[102:103]
	v_add_f64 v[113:114], v[28:29], v[113:114]
	v_add_f64 v[115:116], v[28:29], v[115:116]
	s_mov_b32 s46, 0x7faef3
	s_mov_b32 s50, 0x5d8e7cdc
	;; [unrolled: 1-line block ×6, first 2 shown]
	v_add_f64 v[98:99], v[54:55], -v[22:23]
	v_mul_f64 v[137:138], v[82:83], s[26:27]
	v_mul_f64 v[143:144], v[82:83], s[42:43]
	;; [unrolled: 1-line block ×3, first 2 shown]
	v_fma_f64 v[139:140], v[72:73], s[40:41], -v[104:105]
	v_add_f64 v[117:118], v[28:29], v[117:118]
	v_fma_f64 v[149:150], v[78:79], s[46:47], -v[90:91]
	v_fma_f64 v[145:146], v[72:73], s[46:47], -v[106:107]
	;; [unrolled: 1-line block ×3, first 2 shown]
	v_add_f64 v[121:122], v[28:29], v[121:122]
	v_add_f64 v[123:124], v[28:29], v[123:124]
	v_fma_f64 v[155:156], v[72:73], s[38:39], -v[125:126]
	v_add_f64 v[129:130], v[28:29], v[129:130]
	v_mul_f64 v[88:89], v[82:83], s[14:15]
	v_add_f64 v[113:114], v[127:128], v[113:114]
	v_add_f64 v[127:128], v[60:61], v[133:134]
	;; [unrolled: 1-line block ×3, first 2 shown]
	v_mul_f64 v[131:132], v[82:83], s[52:53]
	s_mov_b32 s48, 0x370991
	s_mov_b32 s55, 0x3fe9895b
	;; [unrolled: 1-line block ×4, first 2 shown]
	v_add_f64 v[135:136], v[20:21], v[52:53]
	v_add_f64 v[133:134], v[50:51], -v[26:27]
	v_mul_f64 v[161:162], v[98:99], s[18:19]
	v_fma_f64 v[163:164], v[78:79], s[20:21], -v[137:138]
	v_fma_f64 v[165:166], v[78:79], s[38:39], -v[143:144]
	v_add_f64 v[117:118], v[139:140], v[117:118]
	v_mul_f64 v[139:140], v[98:99], s[50:51]
	v_mul_f64 v[141:142], v[98:99], s[42:43]
	;; [unrolled: 1-line block ×3, first 2 shown]
	v_add_f64 v[121:122], v[145:146], v[121:122]
	v_add_f64 v[123:124], v[147:148], v[123:124]
	v_mul_f64 v[145:146], v[98:99], s[54:55]
	v_fma_f64 v[147:148], v[78:79], s[16:17], -v[151:152]
	v_add_f64 v[129:130], v[155:156], v[129:130]
	v_add_f64 v[113:114], v[149:150], v[113:114]
	;; [unrolled: 1-line block ×3, first 2 shown]
	v_mul_f64 v[149:150], v[98:99], s[36:37]
	v_fma_f64 v[155:156], v[78:79], s[48:49], -v[131:132]
	v_fma_f64 v[153:154], v[78:79], s[4:5], -v[88:89]
	v_add_f64 v[159:160], v[24:25], v[48:49]
	v_add_f64 v[175:176], v[46:47], -v[34:35]
	v_mul_f64 v[173:174], v[68:69], s[24:25]
	v_add_f64 v[187:188], v[32:33], v[44:45]
	v_mul_f64 v[181:182], v[133:134], s[52:53]
	v_fma_f64 v[177:178], v[135:136], s[6:7], -v[161:162]
	v_mul_f64 v[169:170], v[133:134], s[26:27]
	v_mul_f64 v[183:184], v[76:77], s[50:51]
	v_add_f64 v[117:118], v[163:164], v[117:118]
	v_fma_f64 v[163:164], v[135:136], s[48:49], -v[139:140]
	v_fma_f64 v[167:168], v[135:136], s[38:39], -v[141:142]
	;; [unrolled: 1-line block ×3, first 2 shown]
	v_add_f64 v[121:122], v[165:166], v[121:122]
	v_mul_f64 v[189:190], v[133:134], s[22:23]
	v_fma_f64 v[165:166], v[135:136], s[4:5], -v[145:146]
	v_add_f64 v[123:124], v[147:148], v[123:124]
	v_mul_f64 v[147:148], v[133:134], s[18:19]
	v_add_f64 v[207:208], v[36:37], v[40:41]
	v_add_f64 v[127:128], v[52:53], v[127:128]
	v_fma_f64 v[185:186], v[135:136], s[40:41], -v[149:150]
	v_add_f64 v[129:130], v[155:156], v[129:130]
	v_add_f64 v[115:116], v[153:154], v[115:116]
	v_mul_f64 v[153:154], v[133:134], s[44:45]
	v_mul_f64 v[199:200], v[175:176], s[36:37]
	;; [unrolled: 1-line block ×3, first 2 shown]
	v_fma_f64 v[108:109], v[70:71], s[40:41], v[108:109]
	v_fma_f64 v[197:198], v[159:160], s[48:49], -v[181:182]
	v_mul_f64 v[191:192], v[175:176], s[52:53]
	v_fma_f64 v[155:156], v[159:160], s[20:21], -v[169:170]
	v_mul_f64 v[203:204], v[82:83], s[36:37]
	v_add_f64 v[117:118], v[177:178], v[117:118]
	v_add_f64 v[177:178], v[42:43], -v[38:39]
	v_add_f64 v[113:114], v[167:168], v[113:114]
	v_fma_f64 v[110:111], v[70:71], s[4:5], v[110:111]
	v_add_f64 v[121:122], v[163:164], v[121:122]
	v_mul_f64 v[76:77], v[76:77], s[34:35]
	v_fma_f64 v[84:85], v[70:71], s[38:39], v[84:85]
	v_add_f64 v[123:124], v[165:166], v[123:124]
	v_fma_f64 v[165:166], v[159:160], s[6:7], -v[147:148]
	v_fma_f64 v[119:120], v[72:73], s[6:7], v[119:120]
	v_add_f64 v[127:128], v[48:49], v[127:128]
	v_mul_f64 v[205:206], v[175:176], s[34:35]
	v_add_f64 v[129:130], v[185:186], v[129:130]
	v_mul_f64 v[185:186], v[175:176], s[24:25]
	v_fma_f64 v[167:168], v[159:160], s[40:41], -v[153:154]
	v_add_f64 v[115:116], v[171:172], v[115:116]
	v_fma_f64 v[171:172], v[70:71], s[46:47], v[173:174]
	v_fma_f64 v[213:214], v[187:188], s[40:41], -v[199:200]
	v_add_f64 v[108:109], v[28:29], v[108:109]
	v_fma_f64 v[201:202], v[187:188], s[48:49], -v[191:192]
	v_fma_f64 v[86:87], v[70:71], s[16:17], v[86:87]
	v_fma_f64 v[74:75], v[70:71], s[6:7], v[74:75]
	;; [unrolled: 1-line block ×3, first 2 shown]
	v_mul_f64 v[215:216], v[177:178], s[54:55]
	v_add_f64 v[113:114], v[155:156], v[113:114]
	v_fma_f64 v[155:156], v[70:71], s[46:47], -v[173:174]
	v_fma_f64 v[173:174], v[72:73], s[48:49], v[183:184]
	v_fma_f64 v[183:184], v[72:73], s[48:49], -v[183:184]
	v_fma_f64 v[125:126], v[72:73], s[38:39], v[125:126]
	v_add_f64 v[123:124], v[197:198], v[123:124]
	v_add_f64 v[121:122], v[165:166], v[121:122]
	;; [unrolled: 1-line block ×4, first 2 shown]
	v_mul_f64 v[82:83], v[82:83], s[18:19]
	v_fma_f64 v[104:105], v[72:73], s[40:41], v[104:105]
	v_fma_f64 v[217:218], v[187:188], s[46:47], -v[185:186]
	v_add_f64 v[84:85], v[28:29], v[84:85]
	v_add_f64 v[115:116], v[167:168], v[115:116]
	;; [unrolled: 1-line block ×3, first 2 shown]
	v_fma_f64 v[167:168], v[159:160], s[16:17], -v[189:190]
	v_add_f64 v[108:109], v[119:120], v[108:109]
	v_fma_f64 v[106:107], v[72:73], s[46:47], v[106:107]
	v_add_f64 v[86:87], v[28:29], v[86:87]
	v_fma_f64 v[100:101], v[72:73], s[4:5], v[100:101]
	v_add_f64 v[74:75], v[28:29], v[74:75]
	v_fma_f64 v[102:103], v[72:73], s[16:17], v[102:103]
	v_add_f64 v[113:114], v[201:202], v[113:114]
	v_add_f64 v[155:156], v[28:29], v[155:156]
	v_fma_f64 v[201:202], v[187:188], s[20:21], -v[205:206]
	v_add_f64 v[80:81], v[28:29], v[80:81]
	v_mul_f64 v[179:180], v[133:134], s[24:25]
	v_fma_f64 v[90:91], v[78:79], s[46:47], v[90:91]
	v_add_f64 v[121:122], v[213:214], v[121:122]
	v_fma_f64 v[213:214], v[207:208], s[4:5], -v[215:216]
	v_add_f64 v[127:128], v[40:41], v[127:128]
	v_add_f64 v[110:111], v[125:126], v[110:111]
	v_fma_f64 v[125:126], v[78:79], s[48:49], v[131:132]
	v_add_f64 v[123:124], v[217:218], v[123:124]
	v_fma_f64 v[217:218], v[70:71], s[48:49], -v[68:69]
	v_fma_f64 v[68:69], v[70:71], s[48:49], v[68:69]
	v_add_f64 v[171:172], v[173:174], v[171:172]
	v_add_f64 v[129:130], v[167:168], v[129:130]
	v_fma_f64 v[167:168], v[78:79], s[40:41], v[203:204]
	v_mul_f64 v[173:174], v[98:99], s[26:27]
	v_fma_f64 v[203:204], v[78:79], s[40:41], -v[203:204]
	v_mul_f64 v[98:99], v[98:99], s[30:31]
	v_add_f64 v[84:85], v[104:105], v[84:85]
	v_fma_f64 v[104:105], v[78:79], s[20:21], v[137:138]
	v_add_f64 v[86:87], v[106:107], v[86:87]
	v_add_f64 v[155:156], v[183:184], v[155:156]
	v_fma_f64 v[106:107], v[78:79], s[38:39], v[143:144]
	v_add_f64 v[74:75], v[100:101], v[74:75]
	v_add_f64 v[80:81], v[102:103], v[80:81]
	v_fma_f64 v[88:89], v[78:79], s[4:5], v[88:89]
	v_fma_f64 v[193:194], v[159:160], s[46:47], -v[179:180]
	v_add_f64 v[121:122], v[213:214], v[121:122]
	v_add_f64 v[127:128], v[4:5], v[127:128]
	v_mul_f64 v[163:164], v[175:176], s[42:43]
	v_mul_f64 v[195:196], v[175:176], s[22:23]
	v_fma_f64 v[102:103], v[135:136], s[4:5], v[145:146]
	v_add_f64 v[213:214], v[28:29], v[217:218]
	v_fma_f64 v[217:218], v[72:73], s[20:21], -v[76:77]
	v_fma_f64 v[72:73], v[72:73], s[20:21], v[76:77]
	v_add_f64 v[28:29], v[28:29], v[68:69]
	v_add_f64 v[167:168], v[167:168], v[171:172]
	v_fma_f64 v[171:172], v[135:136], s[20:21], v[173:174]
	v_fma_f64 v[76:77], v[78:79], s[6:7], -v[82:83]
	v_add_f64 v[129:130], v[201:202], v[129:130]
	v_mul_f64 v[201:202], v[133:134], s[14:15]
	v_add_f64 v[84:85], v[104:105], v[84:85]
	v_fma_f64 v[104:105], v[135:136], s[6:7], v[161:162]
	v_add_f64 v[155:156], v[203:204], v[155:156]
	v_add_f64 v[86:87], v[106:107], v[86:87]
	v_fma_f64 v[106:107], v[135:136], s[48:49], v[139:140]
	v_add_f64 v[74:75], v[90:91], v[74:75]
	v_fma_f64 v[90:91], v[135:136], s[38:39], v[141:142]
	;; [unrolled: 2-line block ×4, first 2 shown]
	v_fma_f64 v[78:79], v[78:79], s[6:7], v[82:83]
	v_add_f64 v[117:118], v[193:194], v[117:118]
	v_fma_f64 v[193:194], v[187:188], s[38:39], -v[163:164]
	v_add_f64 v[131:132], v[217:218], v[213:214]
	v_mul_f64 v[211:212], v[177:178], s[8:9]
	v_add_f64 v[28:29], v[72:73], v[28:29]
	v_fma_f64 v[165:166], v[187:188], s[16:17], -v[195:196]
	v_add_f64 v[70:71], v[171:172], v[167:168]
	v_fma_f64 v[171:172], v[135:136], s[20:21], -v[173:174]
	v_mul_f64 v[197:198], v[177:178], s[52:53]
	v_fma_f64 v[143:144], v[159:160], s[4:5], -v[201:202]
	v_fma_f64 v[167:168], v[159:160], s[4:5], v[201:202]
	v_add_f64 v[84:85], v[104:105], v[84:85]
	v_mul_f64 v[141:142], v[175:176], s[14:15]
	v_fma_f64 v[145:146], v[159:160], s[6:7], v[147:148]
	v_add_f64 v[86:87], v[106:107], v[86:87]
	v_fma_f64 v[147:148], v[159:160], s[20:21], v[169:170]
	v_add_f64 v[74:75], v[90:91], v[74:75]
	v_mul_f64 v[209:210], v[177:178], s[30:31]
	v_add_f64 v[80:81], v[88:89], v[80:81]
	v_add_f64 v[119:120], v[36:37], v[119:120]
	;; [unrolled: 1-line block ×4, first 2 shown]
	v_fma_f64 v[110:111], v[135:136], s[40:41], v[149:150]
	v_fma_f64 v[125:126], v[135:136], s[16:17], -v[98:99]
	v_add_f64 v[76:77], v[76:77], v[131:132]
	v_mul_f64 v[131:132], v[133:134], s[28:29]
	v_fma_f64 v[98:99], v[135:136], s[16:17], v[98:99]
	v_add_f64 v[28:29], v[78:79], v[28:29]
	v_fma_f64 v[135:136], v[159:160], s[16:17], v[189:190]
	v_add_f64 v[137:138], v[171:172], v[155:156]
	v_fma_f64 v[88:89], v[159:160], s[40:41], v[153:154]
	v_add_f64 v[68:69], v[6:7], -v[10:11]
	v_add_f64 v[115:116], v[193:194], v[115:116]
	v_fma_f64 v[193:194], v[207:208], s[6:7], -v[211:212]
	v_add_f64 v[117:118], v[165:166], v[117:118]
	v_fma_f64 v[165:166], v[207:208], s[48:49], -v[197:198]
	v_mul_f64 v[221:222], v[177:178], s[26:27]
	v_mul_f64 v[183:184], v[177:178], s[24:25]
	v_add_f64 v[70:71], v[167:168], v[70:71]
	v_mul_f64 v[151:152], v[177:178], s[28:29]
	v_fma_f64 v[153:154], v[187:188], s[46:47], v[185:186]
	v_add_f64 v[119:120], v[32:33], v[119:120]
	v_add_f64 v[100:101], v[102:103], v[100:101]
	v_mul_f64 v[102:103], v[175:176], s[8:9]
	v_add_f64 v[108:109], v[110:111], v[108:109]
	v_fma_f64 v[110:111], v[159:160], s[48:49], v[181:182]
	v_add_f64 v[76:77], v[125:126], v[76:77]
	v_fma_f64 v[104:105], v[159:160], s[38:39], -v[131:132]
	v_fma_f64 v[131:132], v[159:160], s[38:39], v[131:132]
	v_add_f64 v[28:29], v[98:99], v[28:29]
	v_mul_f64 v[155:156], v[177:178], s[36:37]
	v_add_f64 v[137:138], v[143:144], v[137:138]
	v_fma_f64 v[143:144], v[159:160], s[46:47], v[179:180]
	v_add_f64 v[86:87], v[145:146], v[86:87]
	v_fma_f64 v[145:146], v[187:188], s[40:41], v[199:200]
	;; [unrolled: 2-line block ×4, first 2 shown]
	v_fma_f64 v[219:220], v[207:208], s[16:17], -v[209:210]
	v_add_f64 v[82:83], v[8:9], v[4:5]
	v_mul_f64 v[72:73], v[68:69], s[36:37]
	v_mul_f64 v[127:128], v[68:69], s[50:51]
	v_add_f64 v[119:120], v[24:25], v[119:120]
	v_mul_f64 v[133:134], v[68:69], s[14:15]
	v_fma_f64 v[149:150], v[187:188], s[6:7], v[102:103]
	v_fma_f64 v[102:103], v[187:188], s[6:7], -v[102:103]
	v_add_f64 v[100:101], v[110:111], v[100:101]
	v_add_f64 v[108:109], v[135:136], v[108:109]
	v_fma_f64 v[135:136], v[187:188], s[20:21], v[205:206]
	v_add_f64 v[76:77], v[104:105], v[76:77]
	v_fma_f64 v[104:105], v[187:188], s[4:5], -v[141:142]
	v_fma_f64 v[141:142], v[187:188], s[4:5], v[141:142]
	v_add_f64 v[28:29], v[131:132], v[28:29]
	v_add_f64 v[84:85], v[143:144], v[84:85]
	v_fma_f64 v[143:144], v[187:188], s[16:17], v[195:196]
	v_mul_f64 v[139:140], v[68:69], s[26:27]
	v_add_f64 v[115:116], v[193:194], v[115:116]
	v_add_f64 v[117:118], v[165:166], v[117:118]
	v_fma_f64 v[165:166], v[207:208], s[20:21], -v[221:222]
	v_fma_f64 v[193:194], v[207:208], s[46:47], -v[183:184]
	v_mul_f64 v[98:99], v[68:69], s[28:29]
	v_mul_f64 v[110:111], v[68:69], s[8:9]
	v_mul_f64 v[131:132], v[68:69], s[22:23]
	v_mul_f64 v[68:69], v[68:69], s[24:25]
	v_add_f64 v[119:120], v[20:21], v[119:120]
	v_add_f64 v[86:87], v[145:146], v[86:87]
	;; [unrolled: 1-line block ×3, first 2 shown]
	v_fma_f64 v[149:150], v[207:208], s[38:39], v[151:152]
	v_add_f64 v[102:103], v[102:103], v[137:138]
	v_fma_f64 v[137:138], v[207:208], s[38:39], -v[151:152]
	v_add_f64 v[100:101], v[153:154], v[100:101]
	v_fma_f64 v[151:152], v[207:208], s[20:21], v[221:222]
	v_add_f64 v[108:109], v[135:136], v[108:109]
	v_fma_f64 v[135:136], v[207:208], s[46:47], v[183:184]
	v_add_f64 v[76:77], v[104:105], v[76:77]
	v_fma_f64 v[104:105], v[207:208], s[40:41], -v[155:156]
	v_add_f64 v[84:85], v[143:144], v[84:85]
	v_fma_f64 v[143:144], v[207:208], s[48:49], v[197:198]
	v_fma_f64 v[145:146], v[207:208], s[4:5], v[215:216]
	v_add_f64 v[74:75], v[147:148], v[74:75]
	v_fma_f64 v[147:148], v[207:208], s[16:17], v[209:210]
	v_add_f64 v[80:81], v[88:89], v[80:81]
	v_fma_f64 v[88:89], v[207:208], s[6:7], v[211:212]
	v_fma_f64 v[155:156], v[207:208], s[40:41], v[155:156]
	v_add_f64 v[28:29], v[141:142], v[28:29]
	v_add_f64 v[113:114], v[219:220], v[113:114]
	;; [unrolled: 1-line block ×3, first 2 shown]
	v_fma_f64 v[78:79], v[82:83], s[40:41], -v[72:73]
	v_fma_f64 v[125:126], v[82:83], s[48:49], -v[127:128]
	;; [unrolled: 1-line block ×4, first 2 shown]
	v_add_f64 v[123:124], v[165:166], v[123:124]
	v_add_f64 v[129:130], v[193:194], v[129:130]
	v_fma_f64 v[153:154], v[82:83], s[38:39], -v[98:99]
	v_fma_f64 v[141:142], v[82:83], s[6:7], -v[110:111]
	v_add_f64 v[70:71], v[149:150], v[70:71]
	v_fma_f64 v[149:150], v[82:83], s[16:17], v[131:132]
	v_add_f64 v[102:103], v[137:138], v[102:103]
	v_fma_f64 v[131:132], v[82:83], s[16:17], -v[131:132]
	v_add_f64 v[100:101], v[151:152], v[100:101]
	v_fma_f64 v[98:99], v[82:83], s[38:39], v[98:99]
	v_add_f64 v[108:109], v[135:136], v[108:109]
	v_fma_f64 v[110:111], v[82:83], s[6:7], v[110:111]
	v_add_f64 v[76:77], v[104:105], v[76:77]
	v_fma_f64 v[104:105], v[82:83], s[46:47], -v[68:69]
	v_add_f64 v[84:85], v[143:144], v[84:85]
	v_fma_f64 v[133:134], v[82:83], s[4:5], v[133:134]
	v_add_f64 v[86:87], v[145:146], v[86:87]
	v_add_f64 v[119:120], v[12:13], v[119:120]
	v_fma_f64 v[135:136], v[82:83], s[20:21], v[139:140]
	v_add_f64 v[74:75], v[147:148], v[74:75]
	v_fma_f64 v[72:73], v[82:83], s[40:41], v[72:73]
	;; [unrolled: 2-line block ×3, first 2 shown]
	v_fma_f64 v[68:69], v[82:83], s[46:47], v[68:69]
	v_add_f64 v[28:29], v[155:156], v[28:29]
	v_add_f64 v[78:79], v[78:79], v[113:114]
	v_add_f64 v[82:83], v[125:126], v[115:116]
	v_add_f64 v[106:107], v[106:107], v[117:118]
	v_add_f64 v[90:91], v[90:91], v[121:122]
	v_add_f64 v[113:114], v[153:154], v[123:124]
	v_add_f64 v[115:116], v[141:142], v[129:130]
	v_add_f64 v[70:71], v[149:150], v[70:71]
	v_add_f64 v[102:103], v[131:132], v[102:103]
	v_add_f64 v[98:99], v[98:99], v[100:101]
	v_add_f64 v[100:101], v[110:111], v[108:109]
	v_add_f64 v[76:77], v[104:105], v[76:77]
	v_add_f64 v[84:85], v[133:134], v[84:85]
	v_add_f64 v[104:105], v[0:1], v[119:120]
	v_add_f64 v[86:87], v[135:136], v[86:87]
	v_add_f64 v[72:73], v[72:73], v[74:75]
	v_add_f64 v[74:75], v[88:89], v[80:81]
	v_add_f64 v[28:29], v[68:69], v[28:29]
	v_mul_u32_u24_e32 v68, 0x88, v97
	v_add3_u32 v68, 0, v68, v112
	ds_write2_b64 v68, v[82:83], v[78:79] offset0:2 offset1:3
	ds_write2_b64 v68, v[90:91], v[106:107] offset0:4 offset1:5
	;; [unrolled: 1-line block ×5, first 2 shown]
	ds_write2_b64 v68, v[104:105], v[76:77] offset1:1
	ds_write2_b64 v68, v[84:85], v[86:87] offset0:12 offset1:13
	ds_write2_b64 v68, v[72:73], v[74:75] offset0:14 offset1:15
	ds_write_b64 v68, v[28:29] offset:128
.LBB0_14:
	s_or_b32 exec_lo, exec_lo, s1
	s_waitcnt vmcnt(16)
	v_lshlrev_b32_e32 v28, 3, v97
	s_waitcnt vmcnt(0) lgkmcnt(0)
	s_barrier
	buffer_gl0_inv
	v_add_nc_u32_e32 v100, 0, v28
	v_add3_u32 v28, 0, v112, v28
	v_add_nc_u32_e32 v29, v100, v112
	ds_read_b64 v[98:99], v28
	ds_read2_b64 v[72:75], v29 offset0:17 offset1:34
	ds_read2_b64 v[80:83], v29 offset0:51 offset1:68
	;; [unrolled: 1-line block ×6, first 2 shown]
	s_waitcnt lgkmcnt(0)
	s_barrier
	buffer_gl0_inv
	s_and_saveexec_b32 s33, s0
	s_cbranch_execz .LBB0_16
; %bb.15:
	v_add_f64 v[101:102], v[66:67], v[30:31]
	v_add_f64 v[0:1], v[64:65], -v[0:1]
	v_add_f64 v[16:17], v[56:57], -v[16:17]
	;; [unrolled: 1-line block ×3, first 2 shown]
	v_add_f64 v[60:61], v[18:19], v[58:59]
	v_add_f64 v[20:21], v[52:53], -v[20:21]
	v_add_f64 v[52:53], v[26:27], v[50:51]
	v_add_f64 v[24:25], v[48:49], -v[24:25]
	;; [unrolled: 2-line block ×3, first 2 shown]
	v_add_f64 v[44:45], v[38:39], v[42:43]
	s_mov_b32 s26, 0x5d8e7cdc
	s_mov_b32 s44, 0x2a9d6da3
	;; [unrolled: 1-line block ×11, first 2 shown]
	v_add_f64 v[64:65], v[62:63], v[101:102]
	s_mov_b32 s28, 0x4363dd80
	s_mov_b32 s25, 0xbfe9895b
	s_mov_b32 s29, 0xbfe0d888
	v_add_f64 v[66:67], v[2:3], v[66:67]
	s_mov_b32 s34, 0xacd6c6b4
	v_add_f64 v[36:37], v[40:41], -v[36:37]
	v_mul_f64 v[40:41], v[0:1], s[26:27]
	v_mul_f64 v[101:102], v[0:1], s[30:31]
	;; [unrolled: 1-line block ×3, first 2 shown]
	s_mov_b32 s35, 0xbfc7851a
	v_mul_f64 v[105:106], v[0:1], s[24:25]
	v_mul_f64 v[107:108], v[0:1], s[28:29]
	s_mov_b32 s0, 0x370991
	s_mov_b32 s4, 0x75d4884
	s_mov_b32 s6, 0x2b2883cd
	s_mov_b32 s8, 0x3259b75e
	s_mov_b32 s14, 0xc61f0d01
	s_mov_b32 s1, 0x3fedd6d0
	s_mov_b32 s5, 0x3fe7a5f6
	s_mov_b32 s7, 0x3fdc86fa
	s_mov_b32 s9, 0x3fb79ee6
	v_add_f64 v[56:57], v[58:59], v[64:65]
	v_add_f64 v[58:59], v[22:23], v[54:55]
	v_mul_f64 v[64:65], v[0:1], s[46:47]
	s_mov_b32 s15, 0xbfd183b1
	s_mov_b32 s16, 0x6ed5f1bb
	;; [unrolled: 1-line block ×12, first 2 shown]
	v_add_f64 v[62:63], v[14:15], v[62:63]
	v_mul_f64 v[109:110], v[12:13], s[44:45]
	v_mul_f64 v[113:114], v[12:13], s[30:31]
	;; [unrolled: 1-line block ×5, first 2 shown]
	v_fma_f64 v[181:182], v[66:67], s[0:1], v[40:41]
	v_add_f64 v[54:55], v[54:55], v[56:57]
	v_mul_f64 v[56:57], v[0:1], s[44:45]
	v_mul_f64 v[0:1], v[0:1], s[34:35]
	v_fma_f64 v[40:41], v[66:67], s[0:1], -v[40:41]
	v_fma_f64 v[185:186], v[66:67], s[6:7], v[64:65]
	v_fma_f64 v[64:65], v[66:67], s[6:7], -v[64:65]
	v_fma_f64 v[187:188], v[66:67], s[8:9], v[101:102]
	;; [unrolled: 2-line block ×3, first 2 shown]
	s_mov_b32 s23, 0xbfef7484
	s_mov_b32 s39, 0x3fd71e95
	;; [unrolled: 1-line block ×3, first 2 shown]
	v_mul_f64 v[121:122], v[12:13], s[52:53]
	v_mul_f64 v[123:124], v[12:13], s[36:37]
	v_fma_f64 v[191:192], v[66:67], s[16:17], v[105:106]
	v_fma_f64 v[105:106], v[66:67], s[16:17], -v[105:106]
	v_fma_f64 v[193:194], v[66:67], s[18:19], v[107:108]
	v_fma_f64 v[107:108], v[66:67], s[18:19], -v[107:108]
	v_mul_f64 v[12:13], v[12:13], s[38:39]
	s_mov_b32 s55, 0x3fc7851a
	s_mov_b32 s41, 0x3fe58eea
	s_mov_b32 s54, s34
	v_add_f64 v[50:51], v[50:51], v[54:55]
	v_fma_f64 v[183:184], v[66:67], s[4:5], v[56:57]
	v_fma_f64 v[56:57], v[66:67], s[4:5], -v[56:57]
	s_mov_b32 s40, s44
	v_mul_f64 v[125:126], v[16:17], s[46:47]
	v_mul_f64 v[127:128], v[16:17], s[24:25]
	;; [unrolled: 1-line block ×6, first 2 shown]
	v_fma_f64 v[103:104], v[66:67], s[14:15], -v[103:104]
	v_fma_f64 v[195:196], v[62:63], s[8:9], v[113:114]
	v_fma_f64 v[113:114], v[62:63], s[8:9], -v[113:114]
	v_fma_f64 v[197:198], v[62:63], s[16:17], v[115:116]
	;; [unrolled: 2-line block ×4, first 2 shown]
	v_add_f64 v[181:182], v[30:31], v[181:182]
	v_add_f64 v[40:41], v[30:31], v[40:41]
	;; [unrolled: 1-line block ×9, first 2 shown]
	v_mul_f64 v[54:55], v[16:17], s[30:31]
	v_fma_f64 v[203:204], v[62:63], s[14:15], v[121:122]
	v_fma_f64 v[121:122], v[62:63], s[14:15], -v[121:122]
	v_fma_f64 v[205:206], v[62:63], s[6:7], v[123:124]
	v_add_f64 v[105:106], v[30:31], v[105:106]
	v_add_f64 v[193:194], v[30:31], v[193:194]
	v_fma_f64 v[123:124], v[62:63], s[6:7], -v[123:124]
	v_add_f64 v[107:108], v[30:31], v[107:108]
	v_mul_f64 v[135:136], v[16:17], s[26:27]
	v_mul_f64 v[16:17], v[16:17], s[28:29]
	v_fma_f64 v[207:208], v[62:63], s[0:1], v[12:13]
	v_fma_f64 v[12:13], v[62:63], s[0:1], -v[12:13]
	s_mov_b32 s49, 0x3fe9895b
	s_mov_b32 s48, s24
	;; [unrolled: 1-line block ×4, first 2 shown]
	v_mul_f64 v[137:138], v[20:21], s[30:31]
	v_add_f64 v[42:43], v[42:43], v[46:47]
	v_fma_f64 v[46:47], v[66:67], s[22:23], v[0:1]
	v_fma_f64 v[0:1], v[66:67], s[22:23], -v[0:1]
	v_fma_f64 v[66:67], v[62:63], s[4:5], v[109:110]
	v_fma_f64 v[109:110], v[62:63], s[4:5], -v[109:110]
	v_mul_f64 v[139:140], v[20:21], s[34:35]
	v_mul_f64 v[141:142], v[20:21], s[52:53]
	;; [unrolled: 1-line block ×4, first 2 shown]
	v_fma_f64 v[119:120], v[62:63], s[18:19], -v[119:120]
	v_fma_f64 v[62:63], v[60:61], s[6:7], v[125:126]
	v_fma_f64 v[125:126], v[60:61], s[6:7], -v[125:126]
	v_fma_f64 v[209:210], v[60:61], s[16:17], v[127:128]
	;; [unrolled: 2-line block ×5, first 2 shown]
	v_add_f64 v[187:188], v[30:31], v[187:188]
	v_fma_f64 v[245:246], v[52:53], s[0:1], v[163:164]
	v_add_f64 v[103:104], v[30:31], v[103:104]
	v_add_f64 v[42:43], v[6:7], v[42:43]
	;; [unrolled: 1-line block ×12, first 2 shown]
	v_mul_f64 v[149:150], v[20:21], s[48:49]
	v_fma_f64 v[219:220], v[60:61], s[8:9], v[54:55]
	v_add_f64 v[105:106], v[121:122], v[105:106]
	v_add_f64 v[121:122], v[205:206], v[193:194]
	v_mul_f64 v[147:148], v[20:21], s[28:29]
	v_mul_f64 v[20:21], v[20:21], s[40:41]
	;; [unrolled: 1-line block ×7, first 2 shown]
	v_add_f64 v[42:43], v[10:11], v[42:43]
	v_mul_f64 v[161:162], v[24:25], s[42:43]
	v_mul_f64 v[24:25], v[24:25], s[24:25]
	v_fma_f64 v[54:55], v[60:61], s[8:9], -v[54:55]
	v_add_f64 v[107:108], v[123:124], v[107:108]
	v_fma_f64 v[221:222], v[60:61], s[18:19], v[16:17]
	v_fma_f64 v[16:17], v[60:61], s[18:19], -v[16:17]
	v_add_f64 v[0:1], v[12:13], v[0:1]
	v_fma_f64 v[133:134], v[60:61], s[4:5], -v[133:134]
	v_fma_f64 v[217:218], v[60:61], s[0:1], v[135:136]
	v_fma_f64 v[135:136], v[60:61], s[0:1], -v[135:136]
	v_fma_f64 v[60:61], v[58:59], s[8:9], v[137:138]
	;; [unrolled: 2-line block ×6, first 2 shown]
	v_add_f64 v[12:13], v[62:63], v[30:31]
	v_add_f64 v[30:31], v[125:126], v[40:41]
	;; [unrolled: 1-line block ×8, first 2 shown]
	v_fma_f64 v[233:234], v[58:59], s[16:17], v[149:150]
	v_add_f64 v[103:104], v[119:120], v[103:104]
	v_add_f64 v[46:47], v[207:208], v[46:47]
	;; [unrolled: 1-line block ×3, first 2 shown]
	v_fma_f64 v[145:146], v[58:59], s[6:7], -v[145:146]
	v_fma_f64 v[231:232], v[58:59], s[18:19], v[147:148]
	v_fma_f64 v[147:148], v[58:59], s[18:19], -v[147:148]
	v_fma_f64 v[149:150], v[58:59], s[16:17], -v[149:150]
	v_fma_f64 v[235:236], v[58:59], s[4:5], v[20:21]
	v_fma_f64 v[20:21], v[58:59], s[4:5], -v[20:21]
	v_fma_f64 v[58:59], v[52:53], s[14:15], v[151:152]
	;; [unrolled: 2-line block ×4, first 2 shown]
	v_fma_f64 v[155:156], v[52:53], s[4:5], -v[155:156]
	v_add_f64 v[34:35], v[34:35], v[38:39]
	v_fma_f64 v[38:39], v[52:53], s[0:1], -v[163:164]
	v_add_f64 v[163:164], v[201:202], v[189:190]
	v_fma_f64 v[241:242], v[52:53], s[6:7], v[157:158]
	v_fma_f64 v[157:158], v[52:53], s[6:7], -v[157:158]
	v_fma_f64 v[42:43], v[52:53], s[22:23], v[159:160]
	v_fma_f64 v[159:160], v[52:53], s[22:23], -v[159:160]
	;; [unrolled: 2-line block ×4, first 2 shown]
	v_add_f64 v[52:53], v[199:200], v[187:188]
	v_add_f64 v[54:55], v[54:55], v[107:108]
	;; [unrolled: 1-line block ×4, first 2 shown]
	v_mul_f64 v[165:166], v[32:33], s[24:25]
	v_mul_f64 v[167:168], v[32:33], s[52:53]
	;; [unrolled: 1-line block ×7, first 2 shown]
	v_add_f64 v[26:27], v[26:27], v[34:35]
	v_mul_f64 v[32:33], v[32:33], s[36:37]
	v_add_f64 v[127:128], v[215:216], v[163:164]
	v_add_f64 v[105:106], v[135:136], v[105:106]
	;; [unrolled: 1-line block ×16, first 2 shown]
	v_fma_f64 v[115:116], v[48:49], s[16:17], v[165:166]
	v_fma_f64 v[117:118], v[48:49], s[16:17], -v[165:166]
	v_fma_f64 v[34:35], v[48:49], s[14:15], v[167:168]
	v_fma_f64 v[66:67], v[48:49], s[14:15], -v[167:168]
	v_add_f64 v[22:23], v[22:23], v[26:27]
	v_fma_f64 v[109:110], v[48:49], s[0:1], v[169:170]
	v_add_f64 v[127:128], v[229:230], v[127:128]
	v_fma_f64 v[123:124], v[48:49], s[0:1], -v[169:170]
	v_fma_f64 v[125:126], v[48:49], s[18:19], v[50:51]
	v_fma_f64 v[26:27], v[48:49], s[18:19], -v[50:51]
	v_fma_f64 v[50:51], v[48:49], s[8:9], v[171:172]
	;; [unrolled: 2-line block ×3, first 2 shown]
	v_fma_f64 v[107:108], v[48:49], s[4:5], -v[173:174]
	v_add_f64 v[105:106], v[147:148], v[105:106]
	v_add_f64 v[12:13], v[58:59], v[12:13]
	;; [unrolled: 1-line block ×5, first 2 shown]
	v_fma_f64 v[56:57], v[48:49], s[22:23], -v[175:176]
	v_add_f64 v[58:59], v[155:156], v[60:61]
	v_fma_f64 v[60:61], v[48:49], s[6:7], v[32:33]
	v_fma_f64 v[32:33], v[48:49], s[6:7], -v[32:33]
	v_mul_f64 v[177:178], v[36:37], s[28:29]
	v_mul_f64 v[179:180], v[36:37], s[36:37]
	v_add_f64 v[103:104], v[145:146], v[103:104]
	v_add_f64 v[18:19], v[18:19], v[22:23]
	v_fma_f64 v[22:23], v[48:49], s[22:23], v[175:176]
	v_add_f64 v[48:49], v[157:158], v[101:102]
	v_add_f64 v[42:43], v[42:43], v[127:128]
	;; [unrolled: 1-line block ×10, first 2 shown]
	v_mul_f64 v[54:55], v[36:37], s[48:49]
	v_add_f64 v[24:25], v[66:67], v[30:31]
	v_add_f64 v[30:31], v[109:110], v[40:41]
	v_add_f64 v[4:5], v[4:5], -v[8:9]
	v_add_f64 v[40:41], v[123:124], v[58:59]
	v_mul_f64 v[58:59], v[36:37], s[26:27]
	v_add_f64 v[12:13], v[115:116], v[12:13]
	v_fma_f64 v[101:102], v[44:45], s[18:19], v[177:178]
	v_add_f64 v[20:21], v[34:35], v[20:21]
	v_add_f64 v[103:104], v[159:160], v[103:104]
	;; [unrolled: 1-line block ×3, first 2 shown]
	v_mul_f64 v[18:19], v[36:37], s[30:31]
	v_add_f64 v[26:27], v[26:27], v[48:49]
	v_mul_f64 v[48:49], v[36:37], s[34:35]
	v_add_f64 v[42:43], v[50:51], v[42:43]
	v_mul_f64 v[50:51], v[36:37], s[40:41]
	v_mul_f64 v[36:37], v[36:37], s[20:21]
	v_add_f64 v[46:47], v[113:114], v[46:47]
	v_add_f64 v[16:17], v[117:118], v[16:17]
	v_fma_f64 v[34:35], v[44:45], s[18:19], -v[177:178]
	v_add_f64 v[8:9], v[22:23], v[121:122]
	v_fma_f64 v[22:23], v[44:45], s[6:7], v[179:180]
	v_add_f64 v[52:53], v[241:242], v[52:53]
	v_add_f64 v[38:39], v[56:57], v[38:39]
	v_fma_f64 v[56:57], v[44:45], s[6:7], -v[179:180]
	v_add_f64 v[119:120], v[243:244], v[119:120]
	v_add_f64 v[0:1], v[32:33], v[0:1]
	;; [unrolled: 1-line block ×4, first 2 shown]
	v_mul_f64 v[10:11], v[4:5], s[34:35]
	v_add_f64 v[12:13], v[101:102], v[12:13]
	v_add_f64 v[62:63], v[62:63], v[103:104]
	v_mul_f64 v[107:108], v[4:5], s[40:41]
	v_fma_f64 v[32:33], v[44:45], s[8:9], v[18:19]
	v_fma_f64 v[18:19], v[44:45], s[8:9], -v[18:19]
	v_fma_f64 v[101:102], v[44:45], s[22:23], v[48:49]
	v_fma_f64 v[48:49], v[44:45], s[22:23], -v[48:49]
	v_fma_f64 v[103:104], v[44:45], s[4:5], v[50:51]
	v_fma_f64 v[105:106], v[44:45], s[14:15], v[36:37]
	v_fma_f64 v[36:37], v[44:45], s[14:15], -v[36:37]
	v_add_f64 v[46:47], v[60:61], v[46:47]
	v_add_f64 v[16:17], v[34:35], v[16:17]
	v_fma_f64 v[34:35], v[44:45], s[16:17], v[54:55]
	v_fma_f64 v[54:55], v[44:45], s[16:17], -v[54:55]
	v_fma_f64 v[60:61], v[44:45], s[0:1], v[58:59]
	v_fma_f64 v[58:59], v[44:45], s[0:1], -v[58:59]
	v_fma_f64 v[50:51], v[44:45], s[4:5], -v[50:51]
	v_mul_f64 v[44:45], v[4:5], s[38:39]
	v_add_f64 v[20:21], v[22:23], v[20:21]
	v_mul_f64 v[22:23], v[4:5], s[28:29]
	v_add_f64 v[52:53], v[125:126], v[52:53]
	v_add_f64 v[24:25], v[56:57], v[24:25]
	v_mul_f64 v[56:57], v[4:5], s[24:25]
	v_add_f64 v[64:65], v[64:65], v[119:120]
	v_mul_f64 v[109:110], v[4:5], s[36:37]
	;; [unrolled: 2-line block ×3, first 2 shown]
	v_mul_f64 v[4:5], v[4:5], s[42:43]
	v_add_f64 v[18:19], v[18:19], v[40:41]
	v_add_f64 v[8:9], v[103:104], v[8:9]
	;; [unrolled: 1-line block ×4, first 2 shown]
	v_fma_f64 v[36:37], v[6:7], s[22:23], v[10:11]
	v_add_f64 v[46:47], v[105:106], v[46:47]
	v_add_f64 v[2:3], v[2:3], v[14:15]
	;; [unrolled: 1-line block ×6, first 2 shown]
	v_fma_f64 v[50:51], v[6:7], s[0:1], v[44:45]
	v_fma_f64 v[44:45], v[6:7], s[0:1], -v[44:45]
	v_fma_f64 v[54:55], v[6:7], s[18:19], v[22:23]
	v_add_f64 v[34:35], v[34:35], v[52:53]
	v_fma_f64 v[58:59], v[6:7], s[4:5], v[107:108]
	v_fma_f64 v[62:63], v[6:7], s[16:17], v[56:57]
	v_add_f64 v[52:53], v[101:102], v[64:65]
	v_fma_f64 v[64:65], v[6:7], s[6:7], v[109:110]
	v_fma_f64 v[66:67], v[6:7], s[6:7], -v[109:110]
	v_fma_f64 v[101:102], v[6:7], s[14:15], v[32:33]
	v_fma_f64 v[103:104], v[6:7], s[8:9], v[4:5]
	v_fma_f64 v[4:5], v[6:7], s[8:9], -v[4:5]
	v_fma_f64 v[32:33], v[6:7], s[14:15], -v[32:33]
	;; [unrolled: 1-line block ×6, first 2 shown]
	v_add_f64 v[10:11], v[36:37], v[12:13]
	v_add_f64 v[12:13], v[50:51], v[20:21]
	;; [unrolled: 1-line block ×16, first 2 shown]
	v_lshlrev_b32_e32 v16, 7, v97
	v_add3_u32 v16, v100, v16, v112
	ds_write2_b64 v16, v[2:3], v[10:11] offset1:1
	ds_write2_b64 v16, v[12:13], v[20:21] offset0:2 offset1:3
	ds_write2_b64 v16, v[24:25], v[30:31] offset0:4 offset1:5
	;; [unrolled: 1-line block ×7, first 2 shown]
	ds_write_b64 v16, v[6:7] offset:128
.LBB0_16:
	s_or_b32 exec_lo, exec_lo, s33
	s_waitcnt lgkmcnt(0)
	s_barrier
	buffer_gl0_inv
	s_and_saveexec_b32 s0, vcc_lo
	s_cbranch_execz .LBB0_18
; %bb.17:
	v_mul_u32_u24_e32 v0, 12, v97
	s_mov_b32 s0, 0x93053d00
	s_mov_b32 s1, 0xbfef11f4
	;; [unrolled: 1-line block ×4, first 2 shown]
	v_lshlrev_b32_e32 v22, 4, v0
	s_mov_b32 s7, 0x3fec55a7
	s_mov_b32 s5, 0x3fcea1e5
	s_mov_b32 s8, 0x4267c47c
	s_mov_b32 s9, 0xbfddbe06
	s_clause 0x3
	global_load_dwordx4 v[0:3], v22, s[12:13] offset:80
	global_load_dwordx4 v[4:7], v22, s[12:13] offset:64
	;; [unrolled: 1-line block ×4, first 2 shown]
	ds_read2_b64 v[16:19], v29 offset0:85 offset1:102
	s_mov_b32 s27, 0xbfcea1e5
	s_mov_b32 s26, s4
	;; [unrolled: 1-line block ×26, first 2 shown]
	s_waitcnt vmcnt(3)
	v_mul_f64 v[20:21], v[90:91], v[2:3]
	s_waitcnt lgkmcnt(0)
	v_mul_f64 v[2:3], v[18:19], v[2:3]
	v_fma_f64 v[44:45], v[18:19], v[0:1], v[20:21]
	v_fma_f64 v[46:47], v[90:91], v[0:1], -v[2:3]
	s_waitcnt vmcnt(2)
	v_mul_f64 v[0:1], v[88:89], v[6:7]
	v_mul_f64 v[6:7], v[16:17], v[6:7]
	v_fma_f64 v[48:49], v[16:17], v[4:5], v[0:1]
	ds_read2_b64 v[0:3], v29 offset0:119 offset1:136
	v_fma_f64 v[54:55], v[88:89], v[4:5], -v[6:7]
	s_waitcnt vmcnt(1)
	v_mul_f64 v[4:5], v[84:85], v[10:11]
	s_waitcnt lgkmcnt(0)
	v_mul_f64 v[6:7], v[0:1], v[10:11]
	v_fma_f64 v[50:51], v[0:1], v[8:9], v[4:5]
	s_waitcnt vmcnt(0)
	v_mul_f64 v[0:1], v[86:87], v[14:15]
	v_fma_f64 v[52:53], v[84:85], v[8:9], -v[6:7]
	global_load_dwordx4 v[4:7], v22, s[12:13] offset:48
	v_mul_f64 v[8:9], v[2:3], v[14:15]
	v_add_f64 v[142:143], v[44:45], v[50:51]
	v_fma_f64 v[56:57], v[2:3], v[12:13], v[0:1]
	global_load_dwordx4 v[0:3], v22, s[12:13] offset:32
	v_add_f64 v[144:145], v[44:45], -v[50:51]
	v_add_f64 v[122:123], v[46:47], -v[52:53]
	v_add_f64 v[124:125], v[46:47], v[52:53]
	v_fma_f64 v[58:59], v[86:87], v[12:13], -v[8:9]
	ds_read2_b64 v[8:11], v29 offset0:51 offset1:68
	v_mul_f64 v[26:27], v[142:143], s[28:29]
	v_add_f64 v[138:139], v[48:49], v[56:57]
	v_add_f64 v[140:141], v[48:49], -v[56:57]
	v_mul_f64 v[34:35], v[142:143], s[20:21]
	v_mul_f64 v[36:37], v[144:145], s[38:39]
	;; [unrolled: 1-line block ×8, first 2 shown]
	v_add_f64 v[118:119], v[54:55], -v[58:59]
	v_add_f64 v[120:121], v[54:55], v[58:59]
	s_waitcnt vmcnt(1)
	v_mul_f64 v[12:13], v[82:83], v[6:7]
	s_waitcnt lgkmcnt(0)
	v_mul_f64 v[6:7], v[10:11], v[6:7]
	v_fma_f64 v[60:61], v[10:11], v[4:5], v[12:13]
	v_fma_f64 v[62:63], v[82:83], v[4:5], -v[6:7]
	s_waitcnt vmcnt(0)
	v_mul_f64 v[4:5], v[80:81], v[2:3]
	v_mul_f64 v[6:7], v[8:9], v[2:3]
	ds_read2_b64 v[10:13], v29 offset0:153 offset1:170
	v_fma_f64 v[66:67], v[8:9], v[0:1], v[4:5]
	global_load_dwordx4 v[2:5], v22, s[12:13] offset:128
	v_fma_f64 v[82:83], v[80:81], v[0:1], -v[6:7]
	global_load_dwordx4 v[6:9], v22, s[12:13] offset:144
	s_waitcnt vmcnt(1)
	v_mul_f64 v[0:1], v[76:77], v[4:5]
	s_waitcnt lgkmcnt(0)
	v_fma_f64 v[64:65], v[10:11], v[2:3], v[0:1]
	v_mul_f64 v[0:1], v[10:11], v[4:5]
	v_add_f64 v[134:135], v[60:61], v[64:65]
	v_fma_f64 v[76:77], v[76:77], v[2:3], -v[0:1]
	s_waitcnt vmcnt(0)
	v_mul_f64 v[0:1], v[78:79], v[8:9]
	v_add_f64 v[136:137], v[60:61], -v[64:65]
	v_add_f64 v[114:115], v[62:63], -v[76:77]
	v_fma_f64 v[80:81], v[12:13], v[6:7], v[0:1]
	v_mul_f64 v[0:1], v[12:13], v[8:9]
	v_add_f64 v[116:117], v[62:63], v[76:77]
	v_add_f64 v[130:131], v[66:67], v[80:81]
	v_fma_f64 v[78:79], v[78:79], v[6:7], -v[0:1]
	s_clause 0x1
	global_load_dwordx4 v[0:3], v22, s[12:13] offset:16
	global_load_dwordx4 v[4:7], v22, s[12:13]
	ds_read2_b64 v[8:11], v29 offset0:17 offset1:34
	v_add_f64 v[132:133], v[66:67], -v[80:81]
	v_add_f64 v[110:111], v[82:83], -v[78:79]
	v_add_f64 v[112:113], v[82:83], v[78:79]
	s_waitcnt vmcnt(1)
	v_mul_f64 v[12:13], v[74:75], v[2:3]
	s_waitcnt lgkmcnt(0)
	v_mul_f64 v[2:3], v[10:11], v[2:3]
	v_fma_f64 v[84:85], v[10:11], v[0:1], v[12:13]
	v_fma_f64 v[74:75], v[74:75], v[0:1], -v[2:3]
	s_waitcnt vmcnt(0)
	v_mul_f64 v[0:1], v[72:73], v[6:7]
	v_fma_f64 v[88:89], v[8:9], v[4:5], v[0:1]
	v_mul_f64 v[0:1], v[8:9], v[6:7]
	v_fma_f64 v[90:91], v[72:73], v[4:5], -v[0:1]
	s_clause 0x1
	global_load_dwordx4 v[0:3], v22, s[12:13] offset:160
	global_load_dwordx4 v[4:7], v22, s[12:13] offset:176
	ds_read2_b64 v[8:11], v29 offset0:187 offset1:204
	ds_read_b64 v[100:101], v28
	s_mov_b32 s13, 0x3fddbe06
	s_mov_b32 s12, s8
	v_mul_f64 v[28:29], v[144:145], s[30:31]
	v_mul_f64 v[166:167], v[144:145], s[12:13]
	v_mul_f64 v[144:145], v[144:145], s[26:27]
	s_waitcnt vmcnt(1)
	v_mul_f64 v[12:13], v[68:69], v[2:3]
	s_waitcnt lgkmcnt(1)
	v_mul_f64 v[2:3], v[8:9], v[2:3]
	v_fma_f64 v[72:73], v[8:9], v[0:1], v[12:13]
	v_fma_f64 v[68:69], v[68:69], v[0:1], -v[2:3]
	s_waitcnt vmcnt(0)
	v_mul_f64 v[0:1], v[70:71], v[6:7]
	v_add_f64 v[42:43], v[84:85], v[72:73]
	v_add_f64 v[104:105], v[74:75], -v[68:69]
	v_fma_f64 v[86:87], v[10:11], v[4:5], v[0:1]
	v_mul_f64 v[0:1], v[10:11], v[6:7]
	v_add_f64 v[128:129], v[84:85], -v[72:73]
	v_add_f64 v[108:109], v[74:75], v[68:69]
	v_mul_f64 v[6:7], v[42:43], s[6:7]
	v_add_f64 v[40:41], v[88:89], v[86:87]
	v_fma_f64 v[70:71], v[70:71], v[4:5], -v[0:1]
	v_add_f64 v[126:127], v[88:89], -v[86:87]
	v_mul_f64 v[10:11], v[128:129], s[12:13]
	s_waitcnt lgkmcnt(0)
	v_add_f64 v[88:89], v[100:101], v[88:89]
	v_fma_f64 v[2:3], v[104:105], s[8:9], v[6:7]
	v_fma_f64 v[6:7], v[104:105], s[12:13], v[6:7]
	v_mul_f64 v[4:5], v[40:41], s[0:1]
	v_add_f64 v[102:103], v[90:91], -v[70:71]
	v_add_f64 v[106:107], v[90:91], v[70:71]
	v_mul_f64 v[8:9], v[126:127], s[26:27]
	v_fma_f64 v[12:13], v[108:109], s[6:7], v[10:11]
	v_add_f64 v[84:85], v[84:85], v[88:89]
	v_add_f64 v[88:89], v[98:99], v[90:91]
	v_fma_f64 v[0:1], v[102:103], s[4:5], v[4:5]
	v_fma_f64 v[4:5], v[102:103], s[26:27], v[4:5]
	v_add_f64 v[66:67], v[66:67], v[84:85]
	v_add_f64 v[74:75], v[74:75], v[88:89]
	;; [unrolled: 1-line block ×7, first 2 shown]
	v_fma_f64 v[2:3], v[106:107], s[0:1], v[8:9]
	v_add_f64 v[4:5], v[6:7], v[4:5]
	v_fma_f64 v[6:7], v[106:107], s[0:1], -v[8:9]
	v_fma_f64 v[8:9], v[108:109], s[6:7], -v[10:11]
	;; [unrolled: 1-line block ×3, first 2 shown]
	v_add_f64 v[62:63], v[62:63], v[74:75]
	v_add_f64 v[48:49], v[48:49], v[60:61]
	v_mad_u64_u32 v[60:61], null, s2, v95, 0
	v_add_f64 v[2:3], v[98:99], v[2:3]
	v_add_f64 v[6:7], v[98:99], v[6:7]
	;; [unrolled: 1-line block ×5, first 2 shown]
	v_mul_f64 v[12:13], v[130:131], s[14:15]
	v_add_f64 v[6:7], v[8:9], v[6:7]
	v_add_f64 v[46:47], v[46:47], v[54:55]
	;; [unrolled: 1-line block ×3, first 2 shown]
	v_fma_f64 v[14:15], v[110:111], s[16:17], v[12:13]
	v_fma_f64 v[8:9], v[110:111], s[34:35], v[12:13]
	v_mul_f64 v[12:13], v[40:41], s[14:15]
	v_add_f64 v[46:47], v[52:53], v[46:47]
	v_add_f64 v[44:45], v[56:57], v[44:45]
	;; [unrolled: 1-line block ×3, first 2 shown]
	v_mul_f64 v[14:15], v[132:133], s[34:35]
	v_add_f64 v[4:5], v[8:9], v[4:5]
	v_add_f64 v[46:47], v[58:59], v[46:47]
	;; [unrolled: 1-line block ×3, first 2 shown]
	v_fma_f64 v[16:17], v[112:113], s[14:15], v[14:15]
	v_fma_f64 v[8:9], v[112:113], s[14:15], -v[14:15]
	v_mul_f64 v[14:15], v[42:43], s[28:29]
	v_add_f64 v[46:47], v[76:77], v[46:47]
	v_add_f64 v[44:45], v[80:81], v[44:45]
	v_add_f64 v[2:3], v[16:17], v[2:3]
	v_mul_f64 v[16:17], v[134:135], s[18:19]
	v_add_f64 v[6:7], v[8:9], v[6:7]
	v_add_f64 v[46:47], v[78:79], v[46:47]
	;; [unrolled: 1-line block ×3, first 2 shown]
	v_fma_f64 v[18:19], v[114:115], s[36:37], v[16:17]
	v_fma_f64 v[8:9], v[114:115], s[24:25], v[16:17]
	v_mul_f64 v[16:17], v[126:127], s[34:35]
	v_add_f64 v[48:49], v[68:69], v[46:47]
	v_add_f64 v[46:47], v[86:87], v[44:45]
	;; [unrolled: 1-line block ×3, first 2 shown]
	v_mul_f64 v[18:19], v[136:137], s[24:25]
	v_add_f64 v[4:5], v[8:9], v[4:5]
	v_add_f64 v[44:45], v[70:71], v[48:49]
	v_fma_f64 v[20:21], v[116:117], s[18:19], v[18:19]
	v_fma_f64 v[8:9], v[116:117], s[18:19], -v[18:19]
	v_mul_f64 v[18:19], v[128:129], s[30:31]
	v_add_f64 v[2:3], v[20:21], v[2:3]
	v_mul_f64 v[20:21], v[138:139], s[20:21]
	v_add_f64 v[6:7], v[8:9], v[6:7]
	v_fma_f64 v[22:23], v[118:119], s[22:23], v[20:21]
	v_fma_f64 v[8:9], v[118:119], s[38:39], v[20:21]
	;; [unrolled: 1-line block ×3, first 2 shown]
	v_add_f64 v[0:1], v[22:23], v[0:1]
	v_mul_f64 v[22:23], v[140:141], s[38:39]
	v_add_f64 v[4:5], v[8:9], v[4:5]
	v_fma_f64 v[8:9], v[120:121], s[20:21], -v[22:23]
	v_fma_f64 v[24:25], v[120:121], s[20:21], v[22:23]
	v_add_f64 v[8:9], v[8:9], v[6:7]
	v_fma_f64 v[6:7], v[122:123], s[30:31], v[26:27]
	v_add_f64 v[24:25], v[24:25], v[2:3]
	;; [unrolled: 2-line block ×3, first 2 shown]
	v_add_f64 v[4:5], v[10:11], v[8:9]
	v_fma_f64 v[8:9], v[102:103], s[16:17], v[12:13]
	v_fma_f64 v[10:11], v[104:105], s[40:41], v[14:15]
	v_add_f64 v[2:3], v[2:3], v[0:1]
	v_fma_f64 v[0:1], v[124:125], s[28:29], v[28:29]
	v_fma_f64 v[12:13], v[102:103], s[34:35], v[12:13]
	;; [unrolled: 1-line block ×3, first 2 shown]
	v_add_f64 v[8:9], v[100:101], v[8:9]
	v_add_f64 v[0:1], v[0:1], v[24:25]
	;; [unrolled: 1-line block ×4, first 2 shown]
	v_fma_f64 v[10:11], v[106:107], s[14:15], v[16:17]
	v_add_f64 v[12:13], v[14:15], v[12:13]
	v_fma_f64 v[14:15], v[106:107], s[14:15], -v[16:17]
	v_fma_f64 v[16:17], v[108:109], s[28:29], -v[18:19]
	;; [unrolled: 1-line block ×3, first 2 shown]
	v_add_f64 v[10:11], v[98:99], v[10:11]
	v_add_f64 v[14:15], v[98:99], v[14:15]
	;; [unrolled: 1-line block ×3, first 2 shown]
	v_mul_f64 v[20:21], v[130:131], s[18:19]
	v_add_f64 v[14:15], v[16:17], v[14:15]
	v_fma_f64 v[22:23], v[110:111], s[24:25], v[20:21]
	v_fma_f64 v[16:17], v[110:111], s[36:37], v[20:21]
	v_mul_f64 v[20:21], v[40:41], s[20:21]
	v_add_f64 v[8:9], v[22:23], v[8:9]
	v_mul_f64 v[22:23], v[132:133], s[36:37]
	v_add_f64 v[12:13], v[16:17], v[12:13]
	v_fma_f64 v[24:25], v[112:113], s[18:19], v[22:23]
	v_fma_f64 v[16:17], v[112:113], s[18:19], -v[22:23]
	v_mul_f64 v[22:23], v[42:43], s[14:15]
	v_add_f64 v[10:11], v[24:25], v[10:11]
	v_mul_f64 v[24:25], v[134:135], s[0:1]
	v_add_f64 v[14:15], v[16:17], v[14:15]
	v_fma_f64 v[26:27], v[114:115], s[26:27], v[24:25]
	v_fma_f64 v[16:17], v[114:115], s[4:5], v[24:25]
	v_mul_f64 v[24:25], v[126:127], s[38:39]
	v_add_f64 v[8:9], v[26:27], v[8:9]
	v_mul_f64 v[26:27], v[136:137], s[4:5]
	v_add_f64 v[12:13], v[16:17], v[12:13]
	v_fma_f64 v[28:29], v[116:117], s[0:1], v[26:27]
	v_fma_f64 v[16:17], v[116:117], s[0:1], -v[26:27]
	v_mul_f64 v[26:27], v[128:129], s[16:17]
	v_add_f64 v[10:11], v[28:29], v[10:11]
	v_mul_f64 v[28:29], v[138:139], s[6:7]
	v_add_f64 v[14:15], v[16:17], v[14:15]
	v_fma_f64 v[30:31], v[118:119], s[8:9], v[28:29]
	v_fma_f64 v[16:17], v[118:119], s[12:13], v[28:29]
	;; [unrolled: 1-line block ×3, first 2 shown]
	v_add_f64 v[8:9], v[30:31], v[8:9]
	v_mul_f64 v[30:31], v[140:141], s[12:13]
	v_add_f64 v[12:13], v[16:17], v[12:13]
	v_fma_f64 v[16:17], v[120:121], s[6:7], -v[30:31]
	v_fma_f64 v[32:33], v[120:121], s[6:7], v[30:31]
	v_add_f64 v[16:17], v[16:17], v[14:15]
	v_fma_f64 v[14:15], v[122:123], s[38:39], v[34:35]
	v_add_f64 v[32:33], v[32:33], v[10:11]
	v_fma_f64 v[10:11], v[122:123], s[22:23], v[34:35]
	v_add_f64 v[14:15], v[14:15], v[12:13]
	v_add_f64 v[12:13], v[18:19], v[16:17]
	v_fma_f64 v[16:17], v[102:103], s[22:23], v[20:21]
	v_fma_f64 v[18:19], v[104:105], s[34:35], v[22:23]
	v_add_f64 v[10:11], v[10:11], v[8:9]
	v_fma_f64 v[8:9], v[124:125], s[20:21], v[36:37]
	v_fma_f64 v[20:21], v[102:103], s[38:39], v[20:21]
	;; [unrolled: 1-line block ×3, first 2 shown]
	v_add_f64 v[16:17], v[100:101], v[16:17]
	v_add_f64 v[8:9], v[8:9], v[32:33]
	;; [unrolled: 1-line block ×4, first 2 shown]
	v_fma_f64 v[18:19], v[106:107], s[20:21], v[24:25]
	v_add_f64 v[20:21], v[22:23], v[20:21]
	v_fma_f64 v[22:23], v[106:107], s[20:21], -v[24:25]
	v_fma_f64 v[24:25], v[108:109], s[14:15], -v[26:27]
	;; [unrolled: 1-line block ×3, first 2 shown]
	v_add_f64 v[18:19], v[98:99], v[18:19]
	v_add_f64 v[22:23], v[98:99], v[22:23]
	;; [unrolled: 1-line block ×3, first 2 shown]
	v_mul_f64 v[28:29], v[130:131], s[6:7]
	v_add_f64 v[22:23], v[24:25], v[22:23]
	v_fma_f64 v[30:31], v[110:111], s[8:9], v[28:29]
	v_fma_f64 v[24:25], v[110:111], s[12:13], v[28:29]
	v_mul_f64 v[28:29], v[40:41], s[28:29]
	v_add_f64 v[16:17], v[30:31], v[16:17]
	v_mul_f64 v[30:31], v[132:133], s[12:13]
	v_add_f64 v[20:21], v[24:25], v[20:21]
	v_fma_f64 v[32:33], v[112:113], s[6:7], v[30:31]
	v_fma_f64 v[24:25], v[112:113], s[6:7], -v[30:31]
	v_mul_f64 v[30:31], v[42:43], s[0:1]
	v_add_f64 v[18:19], v[32:33], v[18:19]
	v_mul_f64 v[32:33], v[134:135], s[28:29]
	v_add_f64 v[22:23], v[24:25], v[22:23]
	v_fma_f64 v[34:35], v[114:115], s[30:31], v[32:33]
	v_fma_f64 v[24:25], v[114:115], s[40:41], v[32:33]
	v_mul_f64 v[32:33], v[126:127], s[40:41]
	v_add_f64 v[16:17], v[34:35], v[16:17]
	v_mul_f64 v[34:35], v[136:137], s[40:41]
	v_add_f64 v[20:21], v[24:25], v[20:21]
	v_fma_f64 v[36:37], v[116:117], s[28:29], v[34:35]
	v_fma_f64 v[24:25], v[116:117], s[28:29], -v[34:35]
	v_mul_f64 v[34:35], v[128:129], s[26:27]
	v_add_f64 v[18:19], v[36:37], v[18:19]
	v_mul_f64 v[36:37], v[138:139], s[0:1]
	v_add_f64 v[22:23], v[24:25], v[22:23]
	v_fma_f64 v[38:39], v[118:119], s[26:27], v[36:37]
	v_fma_f64 v[24:25], v[118:119], s[4:5], v[36:37]
	;; [unrolled: 1-line block ×3, first 2 shown]
	v_add_f64 v[16:17], v[38:39], v[16:17]
	v_mul_f64 v[38:39], v[140:141], s[4:5]
	v_add_f64 v[20:21], v[24:25], v[20:21]
	v_fma_f64 v[24:25], v[120:121], s[0:1], -v[38:39]
	v_fma_f64 v[146:147], v[120:121], s[0:1], v[38:39]
	v_add_f64 v[24:25], v[24:25], v[22:23]
	v_fma_f64 v[22:23], v[122:123], s[24:25], v[148:149]
	v_add_f64 v[146:147], v[146:147], v[18:19]
	;; [unrolled: 2-line block ×3, first 2 shown]
	v_add_f64 v[20:21], v[26:27], v[24:25]
	v_fma_f64 v[24:25], v[102:103], s[30:31], v[28:29]
	v_fma_f64 v[26:27], v[104:105], s[4:5], v[30:31]
	v_add_f64 v[18:19], v[18:19], v[16:17]
	v_fma_f64 v[16:17], v[124:125], s[18:19], v[150:151]
	v_fma_f64 v[28:29], v[102:103], s[40:41], v[28:29]
	v_fma_f64 v[30:31], v[104:105], s[26:27], v[30:31]
	v_add_f64 v[24:25], v[100:101], v[24:25]
	v_add_f64 v[16:17], v[16:17], v[146:147]
	;; [unrolled: 1-line block ×4, first 2 shown]
	v_fma_f64 v[26:27], v[106:107], s[28:29], v[32:33]
	v_add_f64 v[28:29], v[30:31], v[28:29]
	v_fma_f64 v[30:31], v[106:107], s[28:29], -v[32:33]
	v_fma_f64 v[32:33], v[108:109], s[0:1], -v[34:35]
	;; [unrolled: 1-line block ×3, first 2 shown]
	v_add_f64 v[26:27], v[98:99], v[26:27]
	v_add_f64 v[30:31], v[98:99], v[30:31]
	;; [unrolled: 1-line block ×3, first 2 shown]
	v_mul_f64 v[36:37], v[130:131], s[20:21]
	v_add_f64 v[30:31], v[32:33], v[30:31]
	v_fma_f64 v[38:39], v[110:111], s[38:39], v[36:37]
	v_fma_f64 v[32:33], v[110:111], s[22:23], v[36:37]
	v_mul_f64 v[36:37], v[40:41], s[18:19]
	v_add_f64 v[24:25], v[38:39], v[24:25]
	v_mul_f64 v[38:39], v[132:133], s[22:23]
	v_add_f64 v[28:29], v[32:33], v[28:29]
	v_fma_f64 v[146:147], v[112:113], s[20:21], v[38:39]
	v_fma_f64 v[32:33], v[112:113], s[20:21], -v[38:39]
	v_mul_f64 v[38:39], v[42:43], s[20:21]
	v_add_f64 v[26:27], v[146:147], v[26:27]
	v_mul_f64 v[146:147], v[134:135], s[6:7]
	v_add_f64 v[30:31], v[32:33], v[30:31]
	v_fma_f64 v[148:149], v[114:115], s[8:9], v[146:147]
	v_fma_f64 v[32:33], v[114:115], s[12:13], v[146:147]
	v_mul_f64 v[146:147], v[126:127], s[36:37]
	v_mul_f64 v[126:127], v[126:127], s[8:9]
	v_add_f64 v[24:25], v[148:149], v[24:25]
	v_mul_f64 v[148:149], v[136:137], s[12:13]
	v_add_f64 v[28:29], v[32:33], v[28:29]
	v_fma_f64 v[50:51], v[106:107], s[6:7], v[126:127]
	v_fma_f64 v[150:151], v[116:117], s[6:7], v[148:149]
	v_fma_f64 v[32:33], v[116:117], s[6:7], -v[148:149]
	v_mul_f64 v[148:149], v[128:129], s[38:39]
	v_mul_f64 v[128:129], v[128:129], s[36:37]
	v_add_f64 v[50:51], v[98:99], v[50:51]
	v_add_f64 v[26:27], v[150:151], v[26:27]
	v_mul_f64 v[150:151], v[138:139], s[18:19]
	v_add_f64 v[30:31], v[32:33], v[30:31]
	v_fma_f64 v[54:55], v[108:109], s[18:19], v[128:129]
	v_fma_f64 v[152:153], v[118:119], s[24:25], v[150:151]
	v_fma_f64 v[32:33], v[118:119], s[36:37], v[150:151]
	v_fma_f64 v[150:151], v[108:109], s[20:21], v[148:149]
	v_add_f64 v[50:51], v[54:55], v[50:51]
	v_add_f64 v[24:25], v[152:153], v[24:25]
	v_mul_f64 v[152:153], v[140:141], s[36:37]
	v_add_f64 v[28:29], v[32:33], v[28:29]
	v_fma_f64 v[32:33], v[120:121], s[18:19], -v[152:153]
	v_fma_f64 v[154:155], v[120:121], s[18:19], v[152:153]
	v_add_f64 v[32:33], v[32:33], v[30:31]
	v_fma_f64 v[30:31], v[122:123], s[34:35], v[156:157]
	v_add_f64 v[154:155], v[154:155], v[26:27]
	;; [unrolled: 2-line block ×3, first 2 shown]
	v_add_f64 v[28:29], v[34:35], v[32:33]
	v_fma_f64 v[32:33], v[102:103], s[24:25], v[36:37]
	v_fma_f64 v[34:35], v[104:105], s[22:23], v[38:39]
	v_add_f64 v[26:27], v[26:27], v[24:25]
	v_fma_f64 v[24:25], v[124:125], s[14:15], v[158:159]
	v_fma_f64 v[36:37], v[102:103], s[36:37], v[36:37]
	;; [unrolled: 1-line block ×3, first 2 shown]
	v_add_f64 v[32:33], v[100:101], v[32:33]
	v_add_f64 v[24:25], v[24:25], v[154:155]
	;; [unrolled: 1-line block ×4, first 2 shown]
	v_fma_f64 v[34:35], v[106:107], s[18:19], v[146:147]
	v_add_f64 v[36:37], v[38:39], v[36:37]
	v_fma_f64 v[38:39], v[106:107], s[18:19], -v[146:147]
	v_fma_f64 v[146:147], v[108:109], s[20:21], -v[148:149]
	;; [unrolled: 1-line block ×3, first 2 shown]
	v_add_f64 v[34:35], v[98:99], v[34:35]
	v_add_f64 v[38:39], v[98:99], v[38:39]
	;; [unrolled: 1-line block ×3, first 2 shown]
	v_mul_f64 v[150:151], v[130:131], s[0:1]
	v_mul_f64 v[130:131], v[130:131], s[28:29]
	v_add_f64 v[38:39], v[146:147], v[38:39]
	v_fma_f64 v[152:153], v[110:111], s[4:5], v[150:151]
	v_fma_f64 v[146:147], v[110:111], s[26:27], v[150:151]
	v_fma_f64 v[150:151], v[108:109], s[18:19], -v[128:129]
	v_fma_f64 v[56:57], v[110:111], s[30:31], v[130:131]
	v_add_f64 v[32:33], v[152:153], v[32:33]
	v_mul_f64 v[152:153], v[132:133], s[26:27]
	v_add_f64 v[36:37], v[146:147], v[36:37]
	v_mul_f64 v[132:133], v[132:133], s[40:41]
	v_fma_f64 v[154:155], v[112:113], s[0:1], v[152:153]
	v_fma_f64 v[146:147], v[112:113], s[0:1], -v[152:153]
	v_fma_f64 v[58:59], v[112:113], s[28:29], v[132:133]
	v_add_f64 v[34:35], v[154:155], v[34:35]
	v_mul_f64 v[154:155], v[134:135], s[14:15]
	v_add_f64 v[38:39], v[146:147], v[38:39]
	v_mul_f64 v[134:135], v[134:135], s[20:21]
	v_add_f64 v[50:51], v[58:59], v[50:51]
	v_fma_f64 v[156:157], v[114:115], s[34:35], v[154:155]
	v_fma_f64 v[146:147], v[114:115], s[16:17], v[154:155]
	v_add_f64 v[32:33], v[156:157], v[32:33]
	v_mul_f64 v[156:157], v[136:137], s[16:17]
	v_add_f64 v[36:37], v[146:147], v[36:37]
	v_mul_f64 v[136:137], v[136:137], s[38:39]
	v_fma_f64 v[158:159], v[116:117], s[14:15], v[156:157]
	v_fma_f64 v[146:147], v[116:117], s[14:15], -v[156:157]
	v_fma_f64 v[54:55], v[116:117], s[20:21], v[136:137]
	v_add_f64 v[34:35], v[158:159], v[34:35]
	v_mul_f64 v[158:159], v[138:139], s[28:29]
	v_add_f64 v[38:39], v[146:147], v[38:39]
	v_mul_f64 v[138:139], v[138:139], s[14:15]
	v_add_f64 v[54:55], v[54:55], v[50:51]
	v_fma_f64 v[50:51], v[124:125], s[0:1], v[144:145]
	v_fma_f64 v[160:161], v[118:119], s[40:41], v[158:159]
	;; [unrolled: 1-line block ×3, first 2 shown]
	v_add_f64 v[32:33], v[160:161], v[32:33]
	v_mul_f64 v[160:161], v[140:141], s[30:31]
	v_add_f64 v[36:37], v[146:147], v[36:37]
	v_mul_f64 v[140:141], v[140:141], s[34:35]
	v_fma_f64 v[146:147], v[120:121], s[28:29], -v[160:161]
	v_fma_f64 v[162:163], v[120:121], s[28:29], v[160:161]
	v_fma_f64 v[58:59], v[120:121], s[14:15], v[140:141]
	v_add_f64 v[146:147], v[146:147], v[38:39]
	v_fma_f64 v[38:39], v[122:123], s[12:13], v[164:165]
	v_add_f64 v[162:163], v[162:163], v[34:35]
	;; [unrolled: 2-line block ×3, first 2 shown]
	v_add_f64 v[38:39], v[38:39], v[36:37]
	v_add_f64 v[36:37], v[148:149], v[146:147]
	v_mul_f64 v[146:147], v[40:41], s[6:7]
	v_mul_f64 v[148:149], v[42:43], s[18:19]
	v_add_f64 v[34:35], v[34:35], v[32:33]
	v_fma_f64 v[32:33], v[124:125], s[6:7], v[166:167]
	v_add_f64 v[50:51], v[50:51], v[54:55]
	v_fma_f64 v[40:41], v[102:103], s[8:9], v[146:147]
	v_fma_f64 v[42:43], v[104:105], s[36:37], v[148:149]
	;; [unrolled: 1-line block ×4, first 2 shown]
	v_add_f64 v[32:33], v[32:33], v[162:163]
	v_add_f64 v[40:41], v[100:101], v[40:41]
	;; [unrolled: 1-line block ×4, first 2 shown]
	v_fma_f64 v[42:43], v[106:107], s[6:7], -v[126:127]
	v_add_f64 v[48:49], v[52:53], v[48:49]
	v_fma_f64 v[52:53], v[114:115], s[22:23], v[134:135]
	v_add_f64 v[42:43], v[98:99], v[42:43]
	v_add_f64 v[48:49], v[56:57], v[48:49]
	v_fma_f64 v[56:57], v[118:119], s[16:17], v[138:139]
	v_add_f64 v[42:43], v[150:151], v[42:43]
	v_fma_f64 v[150:151], v[110:111], s[40:41], v[130:131]
	v_add_f64 v[52:53], v[52:53], v[48:49]
	v_mul_lo_u32 v48, s3, v95
	v_mul_lo_u32 v49, s2, v96
	v_mov_b32_e32 v95, 0
	v_add3_u32 v61, v61, v49, v48
	v_fma_f64 v[48:49], v[122:123], s[4:5], v[142:143]
	v_add_f64 v[40:41], v[150:151], v[40:41]
	v_fma_f64 v[150:151], v[112:113], s[28:29], -v[132:133]
	v_add_f64 v[52:53], v[56:57], v[52:53]
	v_lshlrev_b64 v[56:57], 4, v[60:61]
	v_add_co_u32 v58, vcc_lo, s10, v56
	v_add_co_ci_u32_e32 v59, vcc_lo, s11, v57, vcc_lo
	v_lshlrev_b64 v[56:57], 4, v[92:93]
	v_add_co_u32 v58, vcc_lo, v58, v56
	v_add_co_ci_u32_e32 v59, vcc_lo, v59, v57, vcc_lo
	v_add_f64 v[42:43], v[150:151], v[42:43]
	v_fma_f64 v[150:151], v[114:115], s[38:39], v[134:135]
	v_lshlrev_b64 v[56:57], 4, v[94:95]
	v_add_f64 v[52:53], v[48:49], v[52:53]
	v_add_co_u32 v48, vcc_lo, v58, v56
	v_add_co_ci_u32_e32 v49, vcc_lo, v59, v57, vcc_lo
	v_add_co_u32 v54, vcc_lo, 0x800, v48
	v_add_co_ci_u32_e32 v55, vcc_lo, 0, v49, vcc_lo
	v_add_f64 v[40:41], v[150:151], v[40:41]
	v_fma_f64 v[150:151], v[116:117], s[20:21], -v[136:137]
	v_add_f64 v[42:43], v[150:151], v[42:43]
	v_fma_f64 v[150:151], v[118:119], s[34:35], v[138:139]
	v_add_f64 v[40:41], v[150:151], v[40:41]
	v_fma_f64 v[150:151], v[120:121], s[14:15], -v[140:141]
	v_add_f64 v[150:151], v[150:151], v[42:43]
	v_fma_f64 v[42:43], v[122:123], s[26:27], v[142:143]
	v_add_f64 v[42:43], v[42:43], v[40:41]
	v_fma_f64 v[40:41], v[124:125], s[0:1], -v[144:145]
	v_add_f64 v[40:41], v[40:41], v[150:151]
	global_store_dwordx4 v[48:49], v[40:43], off offset:272
	global_store_dwordx4 v[48:49], v[36:39], off offset:544
	;; [unrolled: 1-line block ×11, first 2 shown]
	global_store_dwordx4 v[48:49], v[44:47], off
	global_store_dwordx4 v[54:55], v[50:53], off offset:1216
.LBB0_18:
	s_endpgm
	.section	.rodata,"a",@progbits
	.p2align	6, 0x0
	.amdhsa_kernel fft_rtc_fwd_len221_factors_17_13_wgs_119_tpt_17_halfLds_dp_op_CI_CI_unitstride_sbrr_dirReg
		.amdhsa_group_segment_fixed_size 0
		.amdhsa_private_segment_fixed_size 0
		.amdhsa_kernarg_size 104
		.amdhsa_user_sgpr_count 6
		.amdhsa_user_sgpr_private_segment_buffer 1
		.amdhsa_user_sgpr_dispatch_ptr 0
		.amdhsa_user_sgpr_queue_ptr 0
		.amdhsa_user_sgpr_kernarg_segment_ptr 1
		.amdhsa_user_sgpr_dispatch_id 0
		.amdhsa_user_sgpr_flat_scratch_init 0
		.amdhsa_user_sgpr_private_segment_size 0
		.amdhsa_wavefront_size32 1
		.amdhsa_uses_dynamic_stack 0
		.amdhsa_system_sgpr_private_segment_wavefront_offset 0
		.amdhsa_system_sgpr_workgroup_id_x 1
		.amdhsa_system_sgpr_workgroup_id_y 0
		.amdhsa_system_sgpr_workgroup_id_z 0
		.amdhsa_system_sgpr_workgroup_info 0
		.amdhsa_system_vgpr_workitem_id 0
		.amdhsa_next_free_vgpr 247
		.amdhsa_next_free_sgpr 56
		.amdhsa_reserve_vcc 1
		.amdhsa_reserve_flat_scratch 0
		.amdhsa_float_round_mode_32 0
		.amdhsa_float_round_mode_16_64 0
		.amdhsa_float_denorm_mode_32 3
		.amdhsa_float_denorm_mode_16_64 3
		.amdhsa_dx10_clamp 1
		.amdhsa_ieee_mode 1
		.amdhsa_fp16_overflow 0
		.amdhsa_workgroup_processor_mode 1
		.amdhsa_memory_ordered 1
		.amdhsa_forward_progress 0
		.amdhsa_shared_vgpr_count 0
		.amdhsa_exception_fp_ieee_invalid_op 0
		.amdhsa_exception_fp_denorm_src 0
		.amdhsa_exception_fp_ieee_div_zero 0
		.amdhsa_exception_fp_ieee_overflow 0
		.amdhsa_exception_fp_ieee_underflow 0
		.amdhsa_exception_fp_ieee_inexact 0
		.amdhsa_exception_int_div_zero 0
	.end_amdhsa_kernel
	.text
.Lfunc_end0:
	.size	fft_rtc_fwd_len221_factors_17_13_wgs_119_tpt_17_halfLds_dp_op_CI_CI_unitstride_sbrr_dirReg, .Lfunc_end0-fft_rtc_fwd_len221_factors_17_13_wgs_119_tpt_17_halfLds_dp_op_CI_CI_unitstride_sbrr_dirReg
                                        ; -- End function
	.section	.AMDGPU.csdata,"",@progbits
; Kernel info:
; codeLenInByte = 12656
; NumSgprs: 58
; NumVgprs: 247
; ScratchSize: 0
; MemoryBound: 1
; FloatMode: 240
; IeeeMode: 1
; LDSByteSize: 0 bytes/workgroup (compile time only)
; SGPRBlocks: 7
; VGPRBlocks: 30
; NumSGPRsForWavesPerEU: 58
; NumVGPRsForWavesPerEU: 247
; Occupancy: 4
; WaveLimiterHint : 1
; COMPUTE_PGM_RSRC2:SCRATCH_EN: 0
; COMPUTE_PGM_RSRC2:USER_SGPR: 6
; COMPUTE_PGM_RSRC2:TRAP_HANDLER: 0
; COMPUTE_PGM_RSRC2:TGID_X_EN: 1
; COMPUTE_PGM_RSRC2:TGID_Y_EN: 0
; COMPUTE_PGM_RSRC2:TGID_Z_EN: 0
; COMPUTE_PGM_RSRC2:TIDIG_COMP_CNT: 0
	.text
	.p2alignl 6, 3214868480
	.fill 48, 4, 3214868480
	.type	__hip_cuid_b931fc118cf5d440,@object ; @__hip_cuid_b931fc118cf5d440
	.section	.bss,"aw",@nobits
	.globl	__hip_cuid_b931fc118cf5d440
__hip_cuid_b931fc118cf5d440:
	.byte	0                               ; 0x0
	.size	__hip_cuid_b931fc118cf5d440, 1

	.ident	"AMD clang version 19.0.0git (https://github.com/RadeonOpenCompute/llvm-project roc-6.4.0 25133 c7fe45cf4b819c5991fe208aaa96edf142730f1d)"
	.section	".note.GNU-stack","",@progbits
	.addrsig
	.addrsig_sym __hip_cuid_b931fc118cf5d440
	.amdgpu_metadata
---
amdhsa.kernels:
  - .args:
      - .actual_access:  read_only
        .address_space:  global
        .offset:         0
        .size:           8
        .value_kind:     global_buffer
      - .offset:         8
        .size:           8
        .value_kind:     by_value
      - .actual_access:  read_only
        .address_space:  global
        .offset:         16
        .size:           8
        .value_kind:     global_buffer
      - .actual_access:  read_only
        .address_space:  global
        .offset:         24
        .size:           8
        .value_kind:     global_buffer
      - .actual_access:  read_only
        .address_space:  global
        .offset:         32
        .size:           8
        .value_kind:     global_buffer
      - .offset:         40
        .size:           8
        .value_kind:     by_value
      - .actual_access:  read_only
        .address_space:  global
        .offset:         48
        .size:           8
        .value_kind:     global_buffer
      - .actual_access:  read_only
        .address_space:  global
        .offset:         56
        .size:           8
        .value_kind:     global_buffer
      - .offset:         64
        .size:           4
        .value_kind:     by_value
      - .actual_access:  read_only
        .address_space:  global
        .offset:         72
        .size:           8
        .value_kind:     global_buffer
      - .actual_access:  read_only
        .address_space:  global
        .offset:         80
        .size:           8
        .value_kind:     global_buffer
      - .actual_access:  read_only
        .address_space:  global
        .offset:         88
        .size:           8
        .value_kind:     global_buffer
      - .actual_access:  write_only
        .address_space:  global
        .offset:         96
        .size:           8
        .value_kind:     global_buffer
    .group_segment_fixed_size: 0
    .kernarg_segment_align: 8
    .kernarg_segment_size: 104
    .language:       OpenCL C
    .language_version:
      - 2
      - 0
    .max_flat_workgroup_size: 119
    .name:           fft_rtc_fwd_len221_factors_17_13_wgs_119_tpt_17_halfLds_dp_op_CI_CI_unitstride_sbrr_dirReg
    .private_segment_fixed_size: 0
    .sgpr_count:     58
    .sgpr_spill_count: 0
    .symbol:         fft_rtc_fwd_len221_factors_17_13_wgs_119_tpt_17_halfLds_dp_op_CI_CI_unitstride_sbrr_dirReg.kd
    .uniform_work_group_size: 1
    .uses_dynamic_stack: false
    .vgpr_count:     247
    .vgpr_spill_count: 0
    .wavefront_size: 32
    .workgroup_processor_mode: 1
amdhsa.target:   amdgcn-amd-amdhsa--gfx1030
amdhsa.version:
  - 1
  - 2
...

	.end_amdgpu_metadata
